;; amdgpu-corpus repo=ROCm/rocFFT kind=compiled arch=gfx906 opt=O3
	.text
	.amdgcn_target "amdgcn-amd-amdhsa--gfx906"
	.amdhsa_code_object_version 6
	.protected	bluestein_single_fwd_len768_dim1_dp_op_CI_CI ; -- Begin function bluestein_single_fwd_len768_dim1_dp_op_CI_CI
	.globl	bluestein_single_fwd_len768_dim1_dp_op_CI_CI
	.p2align	8
	.type	bluestein_single_fwd_len768_dim1_dp_op_CI_CI,@function
bluestein_single_fwd_len768_dim1_dp_op_CI_CI: ; @bluestein_single_fwd_len768_dim1_dp_op_CI_CI
; %bb.0:
	s_load_dwordx4 s[16:19], s[4:5], 0x28
	v_mul_u32_u24_e32 v1, 0x556, v0
	v_add_u32_sdwa v208, s6, v1 dst_sel:DWORD dst_unused:UNUSED_PAD src0_sel:DWORD src1_sel:WORD_1
	v_mov_b32_e32 v209, 0
	s_waitcnt lgkmcnt(0)
	v_cmp_gt_u64_e32 vcc, s[16:17], v[208:209]
	s_and_saveexec_b64 s[0:1], vcc
	s_cbranch_execz .LBB0_10
; %bb.1:
	s_load_dwordx4 s[8:11], s[4:5], 0x18
	s_load_dwordx4 s[0:3], s[4:5], 0x0
	v_mov_b32_e32 v2, 48
	v_mul_lo_u16_sdwa v1, v1, v2 dst_sel:DWORD dst_unused:UNUSED_PAD src0_sel:WORD_1 src1_sel:DWORD
	v_sub_u16_e32 v214, v0, v1
	s_waitcnt lgkmcnt(0)
	s_load_dwordx4 s[12:15], s[8:9], 0x0
	v_lshlrev_b32_e32 v213, 4, v214
	v_or_b32_e32 v215, 0xc0, v214
	v_mov_b32_e32 v14, s1
	v_or_b32_e32 v217, 0x180, v214
	s_waitcnt lgkmcnt(0)
	v_mad_u64_u32 v[0:1], s[6:7], s14, v208, 0
	v_mad_u64_u32 v[2:3], s[6:7], s12, v214, 0
	s_movk_i32 s14, 0x1000
	v_lshlrev_b32_e32 v190, 4, v217
	v_mad_u64_u32 v[4:5], s[6:7], s15, v208, v[1:2]
	v_or_b32_e32 v216, 0x240, v214
	v_lshlrev_b32_e32 v189, 4, v216
	v_mad_u64_u32 v[5:6], s[6:7], s13, v214, v[3:4]
	v_mov_b32_e32 v1, v4
	v_lshlrev_b64 v[0:1], 4, v[0:1]
	v_mov_b32_e32 v6, s19
	v_mov_b32_e32 v3, v5
	v_add_co_u32_e32 v40, vcc, s18, v0
	v_addc_co_u32_e32 v41, vcc, v6, v1, vcc
	v_lshlrev_b64 v[0:1], 4, v[2:3]
	s_mul_i32 s6, s13, 0x300
	v_add_co_u32_e32 v4, vcc, v40, v0
	s_mul_hi_u32 s7, s12, 0x300
	v_addc_co_u32_e32 v5, vcc, v41, v1, vcc
	s_add_i32 s6, s7, s6
	s_mul_i32 s7, s12, 0x300
	v_mov_b32_e32 v0, s6
	v_add_co_u32_e32 v6, vcc, s7, v4
	v_addc_co_u32_e32 v7, vcc, v5, v0, vcc
	global_load_dwordx4 v[64:67], v[4:5], off
	global_load_dwordx4 v[68:71], v[6:7], off
	global_load_dwordx4 v[8:11], v213, s[0:1]
	global_load_dwordx4 v[0:3], v213, s[0:1] offset:768
	v_mov_b32_e32 v5, s6
	v_add_co_u32_e32 v4, vcc, s7, v6
	v_addc_co_u32_e32 v5, vcc, v7, v5, vcc
	v_mov_b32_e32 v7, s6
	v_add_co_u32_e32 v6, vcc, s7, v4
	v_addc_co_u32_e32 v7, vcc, v5, v7, vcc
	global_load_dwordx4 v[72:75], v[4:5], off
	global_load_dwordx4 v[76:79], v[6:7], off
	v_mad_u64_u32 v[4:5], s[8:9], s12, v215, 0
	global_load_dwordx4 v[28:31], v213, s[0:1] offset:1536
	global_load_dwordx4 v[20:23], v213, s[0:1] offset:2304
	v_add_co_u32_e32 v50, vcc, s0, v213
	v_mad_u64_u32 v[12:13], s[8:9], s13, v215, v[5:6]
	v_addc_co_u32_e32 v51, vcc, 0, v14, vcc
	v_mov_b32_e32 v5, v12
	v_lshlrev_b64 v[4:5], 4, v[4:5]
	s_mul_i32 s8, s13, 0x600
	v_add_co_u32_e32 v16, vcc, v40, v4
	s_mul_hi_u32 s9, s12, 0x600
	v_addc_co_u32_e32 v17, vcc, v41, v5, vcc
	s_add_i32 s8, s9, s8
	s_mul_i32 s9, s12, 0x600
	v_mov_b32_e32 v4, s8
	v_add_co_u32_e32 v18, vcc, s9, v6
	v_addc_co_u32_e32 v19, vcc, v7, v4, vcc
	global_load_dwordx4 v[84:87], v[16:17], off
	global_load_dwordx4 v[80:83], v[18:19], off
	global_load_dwordx4 v[12:15], v213, s[0:1] offset:3072
	global_load_dwordx4 v[4:7], v213, s[0:1] offset:3840
	v_mov_b32_e32 v17, s6
	v_add_co_u32_e32 v16, vcc, s7, v18
	v_addc_co_u32_e32 v17, vcc, v19, v17, vcc
	v_add_co_u32_e32 v42, vcc, s14, v50
	v_addc_co_u32_e32 v43, vcc, 0, v51, vcc
	global_load_dwordx4 v[88:91], v[16:17], off
	v_mov_b32_e32 v24, s6
	v_add_co_u32_e32 v16, vcc, s7, v16
	v_addc_co_u32_e32 v17, vcc, v17, v24, vcc
	global_load_dwordx4 v[92:95], v[16:17], off
	global_load_dwordx4 v[44:47], v[42:43], off offset:512
	global_load_dwordx4 v[36:39], v[42:43], off offset:1280
	v_mad_u64_u32 v[18:19], s[14:15], s12, v217, 0
	v_mov_b32_e32 v53, s6
	s_mov_b32 s16, 0xa6aea964
	s_mov_b32 s17, 0xbfd87de2
	s_mov_b32 s19, 0x3fd87de2
	s_mov_b32 s18, s16
	s_mov_b32 s21, 0x3fed906b
	s_load_dwordx2 s[4:5], s[4:5], 0x38
	s_waitcnt vmcnt(13)
	v_mul_f64 v[128:129], v[66:67], v[10:11]
	v_mul_f64 v[130:131], v[64:65], v[10:11]
	s_waitcnt vmcnt(12)
	v_mul_f64 v[132:133], v[70:71], v[2:3]
	v_mul_f64 v[134:135], v[68:69], v[2:3]
	v_fma_f64 v[64:65], v[64:65], v[8:9], v[128:129]
	v_fma_f64 v[66:67], v[66:67], v[8:9], -v[130:131]
	v_fma_f64 v[68:69], v[68:69], v[0:1], v[132:133]
	v_fma_f64 v[70:71], v[70:71], v[0:1], -v[134:135]
	s_waitcnt vmcnt(9)
	v_mul_f64 v[136:137], v[74:75], v[30:31]
	s_waitcnt vmcnt(8)
	v_mad_u64_u32 v[24:25], s[14:15], s13, v217, v[19:20]
	v_mul_f64 v[138:139], v[72:73], v[30:31]
	v_mul_f64 v[140:141], v[78:79], v[22:23]
	v_mov_b32_e32 v19, v24
	v_lshlrev_b64 v[18:19], 4, v[18:19]
	global_load_dwordx4 v[24:27], v190, s[0:1]
	v_add_co_u32_e32 v18, vcc, v40, v18
	v_addc_co_u32_e32 v19, vcc, v41, v19, vcc
	global_load_dwordx4 v[96:99], v[18:19], off
	v_mov_b32_e32 v18, s8
	v_add_co_u32_e32 v16, vcc, s9, v16
	v_addc_co_u32_e32 v17, vcc, v17, v18, vcc
	v_mov_b32_e32 v18, s6
	v_add_co_u32_e32 v48, vcc, s7, v16
	v_addc_co_u32_e32 v49, vcc, v17, v18, vcc
	global_load_dwordx4 v[100:103], v[16:17], off
	global_load_dwordx4 v[104:107], v[48:49], off
	global_load_dwordx4 v[32:35], v[42:43], off offset:2816
	s_nop 0
	global_load_dwordx4 v[16:19], v[42:43], off offset:3584
	v_mad_u64_u32 v[42:43], s[14:15], s12, v216, 0
	v_add_co_u32_e32 v52, vcc, s7, v48
	v_addc_co_u32_e32 v53, vcc, v49, v53, vcc
	s_movk_i32 s14, 0x2000
	v_add_co_u32_e32 v56, vcc, s14, v50
	v_addc_co_u32_e32 v57, vcc, 0, v51, vcc
	global_load_dwordx4 v[108:111], v[52:53], off
	global_load_dwordx4 v[48:51], v[56:57], off offset:256
	s_waitcnt vmcnt(9)
	v_mad_u64_u32 v[54:55], s[12:13], s13, v216, v[43:44]
	v_fma_f64 v[72:73], v[72:73], v[28:29], v[136:137]
	v_fma_f64 v[74:75], v[74:75], v[28:29], -v[138:139]
	v_mov_b32_e32 v43, v54
	v_lshlrev_b64 v[42:43], 4, v[42:43]
	v_mov_b32_e32 v54, s8
	v_add_co_u32_e32 v40, vcc, v40, v42
	v_addc_co_u32_e32 v41, vcc, v41, v43, vcc
	v_add_co_u32_e32 v52, vcc, s9, v52
	v_addc_co_u32_e32 v53, vcc, v53, v54, vcc
	global_load_dwordx4 v[112:115], v[40:41], off
	v_mov_b32_e32 v54, s6
	global_load_dwordx4 v[40:43], v189, s[0:1]
	global_load_dwordx4 v[116:119], v[52:53], off
	global_load_dwordx4 v[60:63], v[56:57], off offset:1792
	v_add_co_u32_e32 v52, vcc, s7, v52
	v_addc_co_u32_e32 v53, vcc, v53, v54, vcc
	v_add_co_u32_e32 v58, vcc, s7, v52
	global_load_dwordx4 v[120:123], v[52:53], off
	v_addc_co_u32_e32 v59, vcc, v53, v54, vcc
	global_load_dwordx4 v[52:55], v[56:57], off offset:2560
	global_load_dwordx4 v[124:127], v[58:59], off
	s_nop 0
	global_load_dwordx4 v[56:59], v[56:57], off offset:3328
	v_mul_f64 v[142:143], v[76:77], v[22:23]
	v_mul_f64 v[128:129], v[86:87], v[14:15]
	;; [unrolled: 1-line block ×3, first 2 shown]
	ds_write_b128 v213, v[64:67]
	ds_write_b128 v213, v[68:71] offset:768
	v_mul_f64 v[68:69], v[82:83], v[6:7]
	v_mul_f64 v[70:71], v[80:81], v[6:7]
	ds_write_b128 v213, v[72:75] offset:1536
	v_mul_f64 v[72:73], v[90:91], v[46:47]
	v_mul_f64 v[74:75], v[88:89], v[46:47]
	v_fma_f64 v[76:77], v[76:77], v[20:21], v[140:141]
	v_fma_f64 v[78:79], v[78:79], v[20:21], -v[142:143]
	v_fma_f64 v[64:65], v[84:85], v[12:13], v[128:129]
	v_fma_f64 v[66:67], v[86:87], v[12:13], -v[130:131]
	s_waitcnt vmcnt(16)
	v_mul_f64 v[84:85], v[94:95], v[38:39]
	v_mul_f64 v[86:87], v[92:93], v[38:39]
	v_fma_f64 v[68:69], v[80:81], v[4:5], v[68:69]
	v_fma_f64 v[70:71], v[82:83], v[4:5], -v[70:71]
	v_fma_f64 v[72:73], v[88:89], v[44:45], v[72:73]
	v_fma_f64 v[74:75], v[90:91], v[44:45], -v[74:75]
	ds_write_b128 v213, v[76:79] offset:2304
	ds_write_b128 v213, v[64:67] offset:3072
	v_fma_f64 v[76:77], v[92:93], v[36:37], v[84:85]
	v_fma_f64 v[78:79], v[94:95], v[36:37], -v[86:87]
	ds_write_b128 v213, v[68:71] offset:3840
	ds_write_b128 v213, v[72:75] offset:4608
	s_waitcnt vmcnt(14)
	v_mul_f64 v[80:81], v[98:99], v[26:27]
	v_mul_f64 v[82:83], v[96:97], v[26:27]
	s_load_dwordx4 s[8:11], s[10:11], 0x0
	s_mov_b32 s6, 0x667f3bcd
	ds_write_b128 v213, v[76:79] offset:5376
	s_mov_b32 s7, 0xbfe6a09e
	s_mov_b32 s13, 0x3fe6a09e
	;; [unrolled: 1-line block ×3, first 2 shown]
	v_fma_f64 v[80:81], v[96:97], v[24:25], v[80:81]
	v_fma_f64 v[82:83], v[98:99], v[24:25], -v[82:83]
	s_waitcnt vmcnt(11)
	v_mul_f64 v[84:85], v[102:103], v[34:35]
	v_mul_f64 v[86:87], v[100:101], v[34:35]
	s_waitcnt vmcnt(10)
	v_mul_f64 v[88:89], v[106:107], v[18:19]
	v_mul_f64 v[90:91], v[104:105], v[18:19]
	s_mov_b32 s14, 0xcf328d46
	s_mov_b32 s15, 0xbfed906b
	;; [unrolled: 1-line block ×3, first 2 shown]
	v_cmp_gt_u16_e32 vcc, 16, v214
	v_fma_f64 v[84:85], v[100:101], v[32:33], v[84:85]
	v_fma_f64 v[86:87], v[102:103], v[32:33], -v[86:87]
	v_fma_f64 v[88:89], v[104:105], v[16:17], v[88:89]
	v_fma_f64 v[90:91], v[106:107], v[16:17], -v[90:91]
	s_waitcnt vmcnt(8)
	v_mul_f64 v[92:93], v[110:111], v[50:51]
	v_mul_f64 v[94:95], v[108:109], v[50:51]
	v_fma_f64 v[92:93], v[108:109], v[48:49], v[92:93]
	v_fma_f64 v[94:95], v[110:111], v[48:49], -v[94:95]
	s_waitcnt vmcnt(6)
	v_mul_f64 v[96:97], v[114:115], v[42:43]
	v_mul_f64 v[98:99], v[112:113], v[42:43]
	s_waitcnt vmcnt(4)
	v_mul_f64 v[64:65], v[118:119], v[62:63]
	v_mul_f64 v[66:67], v[116:117], v[62:63]
	v_fma_f64 v[96:97], v[112:113], v[40:41], v[96:97]
	s_waitcnt vmcnt(2)
	v_mul_f64 v[68:69], v[122:123], v[54:55]
	v_mul_f64 v[70:71], v[120:121], v[54:55]
	s_waitcnt vmcnt(0)
	v_mul_f64 v[72:73], v[126:127], v[58:59]
	v_mul_f64 v[74:75], v[124:125], v[58:59]
	v_fma_f64 v[98:99], v[114:115], v[40:41], -v[98:99]
	v_fma_f64 v[64:65], v[116:117], v[60:61], v[64:65]
	v_fma_f64 v[66:67], v[118:119], v[60:61], -v[66:67]
	v_fma_f64 v[68:69], v[120:121], v[52:53], v[68:69]
	;; [unrolled: 2-line block ×3, first 2 shown]
	v_fma_f64 v[74:75], v[126:127], v[56:57], -v[74:75]
	ds_write_b128 v213, v[80:83] offset:6144
	ds_write_b128 v213, v[84:87] offset:6912
	;; [unrolled: 1-line block ×8, first 2 shown]
	s_waitcnt lgkmcnt(0)
	; wave barrier
	s_waitcnt lgkmcnt(0)
	ds_read_b128 v[64:67], v213 offset:6144
	ds_read_b128 v[68:71], v213
	ds_read_b128 v[72:75], v213 offset:768
	ds_read_b128 v[76:79], v213 offset:6912
	;; [unrolled: 1-line block ×4, first 2 shown]
	s_waitcnt lgkmcnt(4)
	v_add_f64 v[116:117], v[68:69], -v[64:65]
	ds_read_b128 v[88:91], v213 offset:3072
	v_add_f64 v[118:119], v[70:71], -v[66:67]
	ds_read_b128 v[64:67], v213 offset:10752
	ds_read_b128 v[92:95], v213 offset:3840
	;; [unrolled: 1-line block ×4, first 2 shown]
	s_waitcnt lgkmcnt(7)
	v_add_f64 v[76:77], v[72:73], -v[76:77]
	s_waitcnt lgkmcnt(4)
	v_add_f64 v[120:121], v[88:89], -v[80:81]
	v_add_f64 v[122:123], v[90:91], -v[82:83]
	ds_read_b128 v[80:83], v213 offset:2304
	ds_read_b128 v[104:107], v213 offset:8448
	;; [unrolled: 1-line block ×3, first 2 shown]
	s_waitcnt lgkmcnt(3)
	v_add_f64 v[124:125], v[100:101], -v[84:85]
	v_add_f64 v[126:127], v[102:103], -v[86:87]
	ds_read_b128 v[84:87], v213 offset:5376
	ds_read_b128 v[112:115], v213 offset:11520
	v_add_f64 v[98:99], v[94:95], -v[98:99]
	s_waitcnt lgkmcnt(2)
	v_add_f64 v[66:67], v[110:111], -v[66:67]
	v_add_f64 v[104:105], v[80:81], -v[104:105]
	;; [unrolled: 1-line block ×3, first 2 shown]
	s_waitcnt lgkmcnt(0)
	v_add_f64 v[114:115], v[86:87], -v[114:115]
	v_fma_f64 v[90:91], v[90:91], 2.0, -v[122:123]
	v_add_f64 v[78:79], v[74:75], -v[78:79]
	v_add_f64 v[96:97], v[92:93], -v[96:97]
	v_add_f64 v[106:107], v[82:83], -v[106:107]
	v_add_f64 v[112:113], v[84:85], -v[112:113]
	v_add_f64 v[122:123], v[116:117], -v[122:123]
	v_add_f64 v[128:129], v[124:125], -v[66:67]
	v_add_f64 v[130:131], v[76:77], -v[98:99]
	v_add_f64 v[132:133], v[104:105], -v[114:115]
	v_fma_f64 v[68:69], v[68:69], 2.0, -v[116:117]
	v_fma_f64 v[88:89], v[88:89], 2.0, -v[120:121]
	;; [unrolled: 1-line block ×4, first 2 shown]
	v_add_f64 v[120:121], v[118:119], v[120:121]
	v_add_f64 v[134:135], v[126:127], v[64:65]
	;; [unrolled: 1-line block ×4, first 2 shown]
	v_fma_f64 v[64:65], v[116:117], 2.0, -v[122:123]
	v_fma_f64 v[116:117], v[124:125], 2.0, -v[128:129]
	;; [unrolled: 1-line block ×10, first 2 shown]
	v_fma_f64 v[146:147], v[116:117], s[6:7], v[64:65]
	v_fma_f64 v[148:149], v[140:141], s[6:7], v[124:125]
	v_fma_f64 v[72:73], v[72:73], 2.0, -v[76:77]
	v_fma_f64 v[74:75], v[74:75], 2.0, -v[78:79]
	;; [unrolled: 1-line block ×3, first 2 shown]
	v_fma_f64 v[76:77], v[126:127], s[6:7], v[118:119]
	v_fma_f64 v[94:95], v[94:95], 2.0, -v[98:99]
	v_fma_f64 v[78:79], v[144:145], s[6:7], v[142:143]
	v_fma_f64 v[126:127], v[126:127], s[6:7], v[146:147]
	;; [unrolled: 1-line block ×3, first 2 shown]
	v_fma_f64 v[66:67], v[110:111], 2.0, -v[66:67]
	v_add_f64 v[88:89], v[68:69], -v[88:89]
	v_add_f64 v[92:93], v[72:73], -v[92:93]
	v_fma_f64 v[116:117], v[116:117], s[12:13], v[76:77]
	v_fma_f64 v[76:77], v[80:81], 2.0, -v[104:105]
	v_fma_f64 v[98:99], v[140:141], s[12:13], v[78:79]
	v_fma_f64 v[104:105], v[64:65], 2.0, -v[126:127]
	v_fma_f64 v[78:79], v[124:125], 2.0, -v[96:97]
	;; [unrolled: 1-line block ×6, first 2 shown]
	v_add_f64 v[110:111], v[102:103], -v[66:67]
	v_fma_f64 v[84:85], v[142:143], 2.0, -v[98:99]
	v_fma_f64 v[114:115], v[132:133], s[12:13], v[130:131]
	v_fma_f64 v[86:87], v[78:79], s[14:15], v[104:105]
	;; [unrolled: 1-line block ×3, first 2 shown]
	v_add_f64 v[82:83], v[76:77], -v[82:83]
	v_add_f64 v[112:113], v[80:81], -v[64:65]
	v_fma_f64 v[148:149], v[138:139], s[12:13], v[136:137]
	v_add_f64 v[118:119], v[88:89], -v[110:111]
	v_fma_f64 v[66:67], v[84:85], s[14:15], v[106:107]
	v_fma_f64 v[114:115], v[138:139], s[6:7], v[114:115]
	;; [unrolled: 1-line block ×3, first 2 shown]
	v_add_f64 v[84:85], v[70:71], -v[90:91]
	v_add_f64 v[86:87], v[100:101], -v[108:109]
	;; [unrolled: 1-line block ×3, first 2 shown]
	v_fma_f64 v[94:95], v[128:129], s[12:13], v[122:123]
	v_add_f64 v[108:109], v[92:93], -v[112:113]
	v_fma_f64 v[142:143], v[88:89], 2.0, -v[118:119]
	v_fma_f64 v[66:67], v[78:79], s[18:19], v[66:67]
	v_fma_f64 v[128:129], v[128:129], s[12:13], v[146:147]
	;; [unrolled: 1-line block ×3, first 2 shown]
	v_add_f64 v[124:125], v[84:85], v[86:87]
	v_add_f64 v[140:141], v[90:91], v[82:83]
	v_fma_f64 v[134:135], v[134:135], s[6:7], v[94:95]
	v_fma_f64 v[144:145], v[92:93], 2.0, -v[108:109]
	v_fma_f64 v[130:131], v[130:131], 2.0, -v[114:115]
	;; [unrolled: 1-line block ×13, first 2 shown]
	v_fma_f64 v[94:95], v[144:145], s[6:7], v[142:143]
	v_fma_f64 v[80:81], v[78:79], s[6:7], v[138:139]
	v_fma_f64 v[110:111], v[120:121], 2.0, -v[128:129]
	v_fma_f64 v[82:83], v[136:137], 2.0, -v[132:133]
	v_fma_f64 v[90:91], v[130:131], s[16:17], v[122:123]
	v_add_f64 v[112:113], v[88:89], -v[68:69]
	v_add_f64 v[120:121], v[84:85], -v[70:71]
	;; [unrolled: 1-line block ×4, first 2 shown]
	v_fma_f64 v[68:69], v[78:79], s[6:7], v[94:95]
	v_fma_f64 v[70:71], v[144:145], s[12:13], v[80:81]
	;; [unrolled: 1-line block ×4, first 2 shown]
	v_fma_f64 v[90:91], v[88:89], 2.0, -v[112:113]
	v_fma_f64 v[84:85], v[84:85], 2.0, -v[120:121]
	;; [unrolled: 1-line block ×4, first 2 shown]
	v_fma_f64 v[82:83], v[96:97], s[18:19], v[126:127]
	v_fma_f64 v[86:87], v[98:99], s[18:19], v[116:117]
	;; [unrolled: 1-line block ×6, first 2 shown]
	v_add_f64 v[76:77], v[90:91], -v[78:79]
	v_add_f64 v[78:79], v[84:85], -v[80:81]
	v_fma_f64 v[144:145], v[132:133], s[20:21], v[128:129]
	v_fma_f64 v[80:81], v[98:99], s[14:15], v[82:83]
	;; [unrolled: 1-line block ×3, first 2 shown]
	v_lshlrev_b16_e32 v96, 4, v214
	v_fma_f64 v[88:89], v[140:141], s[6:7], v[88:89]
	v_lshlrev_b32_e32 v188, 4, v96
	v_fma_f64 v[92:93], v[90:91], 2.0, -v[76:77]
	v_fma_f64 v[94:95], v[84:85], 2.0, -v[78:79]
	v_fma_f64 v[90:91], v[108:109], s[12:13], v[130:131]
	v_fma_f64 v[84:85], v[132:133], s[16:17], v[136:137]
	;; [unrolled: 1-line block ×3, first 2 shown]
	s_waitcnt lgkmcnt(0)
	; wave barrier
	v_fma_f64 v[96:97], v[104:105], 2.0, -v[64:65]
	v_fma_f64 v[98:99], v[106:107], 2.0, -v[66:67]
	ds_write_b128 v188, v[92:95]
	v_add_f64 v[94:95], v[120:121], v[100:101]
	v_add_f64 v[92:93], v[112:113], -v[102:103]
	v_fma_f64 v[114:115], v[116:117], 2.0, -v[82:83]
	v_fma_f64 v[116:117], v[118:119], 2.0, -v[88:89]
	;; [unrolled: 1-line block ×12, first 2 shown]
	ds_write_b128 v188, v[96:99] offset:16
	ds_write_b128 v188, v[100:103] offset:32
	;; [unrolled: 1-line block ×15, first 2 shown]
	s_waitcnt lgkmcnt(0)
	; wave barrier
	s_waitcnt lgkmcnt(0)
	ds_read_b128 v[88:91], v213
	ds_read_b128 v[80:83], v213 offset:768
	ds_read_b128 v[108:111], v213 offset:8192
	;; [unrolled: 1-line block ×14, first 2 shown]
                                        ; implicit-def: $vgpr140_vgpr141
                                        ; implicit-def: $vgpr144_vgpr145
	s_and_saveexec_b64 s[6:7], vcc
	s_cbranch_execz .LBB0_3
; %bb.2:
	ds_read_b128 v[84:87], v213 offset:3840
	ds_read_b128 v[140:143], v213 offset:7936
	;; [unrolled: 1-line block ×3, first 2 shown]
.LBB0_3:
	s_or_b64 exec, exec, s[6:7]
	v_lshlrev_b32_e32 v64, 5, v214
	v_and_b32_e32 v148, 0x1e0, v64
	global_load_dwordx4 v[64:67], v148, s[2:3]
	global_load_dwordx4 v[68:71], v148, s[2:3] offset:16
	global_load_dwordx4 v[72:75], v148, s[2:3] offset:8
	v_and_b32_e32 v199, 15, v214
	global_load_dwordx2 v[209:210], v148, s[2:3] offset:24
	v_lshlrev_b32_e32 v148, 5, v199
	global_load_dwordx2 v[211:212], v148, s[2:3]
	s_mov_b32 s6, 0xe8584caa
	s_mov_b32 s7, 0x3febb67a
	;; [unrolled: 1-line block ×4, first 2 shown]
	v_add_u32_e32 v200, 48, v214
	s_waitcnt lgkmcnt(0)
	; wave barrier
	s_waitcnt lgkmcnt(0)
	v_add_u32_e32 v201, 0x60, v214
	v_add_u32_e32 v202, 0x90, v214
	s_waitcnt vmcnt(4)
	v_mul_f64 v[148:149], v[138:139], v[66:67]
	v_mul_f64 v[150:151], v[136:137], v[66:67]
	s_waitcnt vmcnt(3)
	v_mul_f64 v[152:153], v[110:111], v[70:71]
	v_mul_f64 v[154:155], v[108:109], v[70:71]
	;; [unrolled: 1-line block ×16, first 2 shown]
	s_waitcnt vmcnt(2)
	v_mul_f64 v[191:192], v[142:143], v[72:73]
	v_mul_f64 v[193:194], v[140:141], v[72:73]
	s_waitcnt vmcnt(1)
	v_mul_f64 v[195:196], v[146:147], v[209:210]
	s_waitcnt vmcnt(0)
	v_fma_f64 v[136:137], v[136:137], v[211:212], -v[148:149]
	v_fma_f64 v[138:139], v[138:139], v[211:212], v[150:151]
	v_fma_f64 v[108:109], v[108:109], v[74:75], -v[152:153]
	v_fma_f64 v[110:111], v[110:111], v[74:75], v[154:155]
	;; [unrolled: 2-line block ×4, first 2 shown]
	v_mul_f64 v[180:181], v[130:131], v[66:67]
	v_mul_f64 v[186:187], v[124:125], v[70:71]
	;; [unrolled: 1-line block ×3, first 2 shown]
	v_fma_f64 v[152:153], v[104:105], v[211:212], -v[164:165]
	v_fma_f64 v[154:155], v[106:107], v[211:212], v[166:167]
	v_fma_f64 v[116:117], v[116:117], v[74:75], -v[168:169]
	v_fma_f64 v[118:119], v[118:119], v[74:75], v[170:171]
	;; [unrolled: 2-line block ×4, first 2 shown]
	v_fma_f64 v[160:161], v[130:131], v[211:212], v[182:183]
	v_fma_f64 v[162:163], v[124:125], v[74:75], -v[184:185]
	v_fma_f64 v[100:101], v[140:141], v[64:65], -v[191:192]
	v_fma_f64 v[106:107], v[142:143], v[64:65], v[193:194]
	v_fma_f64 v[102:103], v[144:145], v[68:69], -v[195:196]
	v_add_f64 v[122:123], v[88:89], v[136:137]
	v_add_f64 v[124:125], v[136:137], v[108:109]
	;; [unrolled: 1-line block ×4, first 2 shown]
	v_add_f64 v[142:143], v[114:115], -v[150:151]
	v_add_f64 v[144:145], v[82:83], v[114:115]
	v_add_f64 v[114:115], v[114:115], v[150:151]
	v_fma_f64 v[158:159], v[128:129], v[211:212], -v[180:181]
	v_fma_f64 v[164:165], v[126:127], v[74:75], v[186:187]
	v_fma_f64 v[104:105], v[146:147], v[68:69], v[197:198]
	v_add_f64 v[126:127], v[138:139], -v[110:111]
	v_add_f64 v[128:129], v[90:91], v[138:139]
	v_add_f64 v[136:137], v[136:137], -v[108:109]
	v_add_f64 v[138:139], v[80:81], v[112:113]
	;; [unrolled: 2-line block ×3, first 2 shown]
	v_add_f64 v[166:167], v[152:153], v[116:117]
	v_add_f64 v[168:169], v[154:155], -v[118:119]
	v_add_f64 v[170:171], v[98:99], v[154:155]
	v_add_f64 v[154:155], v[154:155], v[118:119]
	;; [unrolled: 1-line block ×4, first 2 shown]
	v_add_f64 v[176:177], v[134:135], -v[156:157]
	v_add_f64 v[178:179], v[94:95], v[134:135]
	v_add_f64 v[134:135], v[134:135], v[156:157]
	;; [unrolled: 1-line block ×3, first 2 shown]
	v_fma_f64 v[122:123], v[124:125], -0.5, v[88:89]
	v_fma_f64 v[124:125], v[130:131], -0.5, v[90:91]
	;; [unrolled: 1-line block ×4, first 2 shown]
	v_add_f64 v[152:153], v[152:153], -v[116:117]
	v_add_f64 v[180:181], v[132:133], -v[120:121]
	v_add_f64 v[88:89], v[138:139], v[148:149]
	v_add_f64 v[90:91], v[144:145], v[150:151]
	;; [unrolled: 1-line block ×3, first 2 shown]
	v_fma_f64 v[130:131], v[166:167], -0.5, v[96:97]
	v_add_f64 v[114:115], v[170:171], v[118:119]
	v_fma_f64 v[98:99], v[154:155], -0.5, v[98:99]
	v_add_f64 v[96:97], v[172:173], v[120:121]
	v_fma_f64 v[138:139], v[174:175], -0.5, v[92:93]
	v_fma_f64 v[144:145], v[134:135], -0.5, v[94:95]
	v_fma_f64 v[92:93], v[126:127], s[6:7], v[122:123]
	v_fma_f64 v[116:117], v[126:127], s[12:13], v[122:123]
	;; [unrolled: 1-line block ×8, first 2 shown]
	v_add_f64 v[80:81], v[76:77], v[158:159]
	v_add_f64 v[82:83], v[158:159], v[162:163]
	;; [unrolled: 1-line block ×4, first 2 shown]
	v_fma_f64 v[128:129], v[168:169], s[6:7], v[130:131]
	v_fma_f64 v[132:133], v[168:169], s[12:13], v[130:131]
	v_fma_f64 v[130:131], v[152:153], s[12:13], v[98:99]
	v_fma_f64 v[134:135], v[152:153], s[6:7], v[98:99]
	v_fma_f64 v[136:137], v[176:177], s[6:7], v[138:139]
	v_fma_f64 v[140:141], v[176:177], s[12:13], v[138:139]
	v_add_f64 v[98:99], v[178:179], v[156:157]
	v_fma_f64 v[138:139], v[180:181], s[12:13], v[144:145]
	v_fma_f64 v[142:143], v[180:181], s[6:7], v[144:145]
	v_add_f64 v[144:145], v[80:81], v[162:163]
	v_add_f64 v[80:81], v[106:107], v[104:105]
	v_fma_f64 v[76:77], v[82:83], -0.5, v[76:77]
	v_add_f64 v[82:83], v[160:161], -v[164:165]
	v_add_f64 v[154:155], v[158:159], -v[162:163]
	v_fma_f64 v[156:157], v[148:149], -0.5, v[84:85]
	v_add_f64 v[158:159], v[106:107], -v[104:105]
	v_add_f64 v[146:147], v[160:161], v[164:165]
	v_add_f64 v[150:151], v[78:79], v[160:161]
	v_fma_f64 v[160:161], v[80:81], -0.5, v[86:87]
	v_add_f64 v[162:163], v[100:101], -v[102:103]
	v_fma_f64 v[148:149], v[82:83], s[6:7], v[76:77]
	v_fma_f64 v[152:153], v[82:83], s[12:13], v[76:77]
	v_fma_f64 v[76:77], v[158:159], s[6:7], v[156:157]
	v_fma_f64 v[80:81], v[158:159], s[12:13], v[156:157]
	v_lshrrev_b32_e32 v156, 4, v214
	v_mul_u32_u24_e32 v156, 48, v156
	v_fma_f64 v[78:79], v[146:147], -0.5, v[78:79]
	v_or_b32_e32 v156, v156, v199
	v_lshlrev_b32_e32 v218, 4, v156
	ds_write_b128 v218, v[108:111]
	ds_write_b128 v218, v[92:95] offset:256
	ds_write_b128 v218, v[116:119] offset:512
	v_lshrrev_b32_e32 v92, 4, v200
	v_mul_u32_u24_e32 v92, 48, v92
	v_or_b32_e32 v92, v92, v199
	v_lshlrev_b32_e32 v219, 4, v92
	ds_write_b128 v219, v[88:91]
	ds_write_b128 v219, v[120:123] offset:256
	ds_write_b128 v219, v[124:127] offset:512
	v_lshrrev_b32_e32 v88, 4, v201
	v_mul_u32_u24_e32 v88, 48, v88
	v_add_f64 v[146:147], v[150:151], v[164:165]
	v_fma_f64 v[150:151], v[154:155], s[12:13], v[78:79]
	v_fma_f64 v[154:155], v[154:155], s[6:7], v[78:79]
	;; [unrolled: 1-line block ×4, first 2 shown]
	v_or_b32_e32 v88, v88, v199
	v_lshlrev_b32_e32 v220, 4, v88
	v_lshrrev_b32_e32 v88, 4, v202
	v_mul_u32_u24_e32 v88, 48, v88
	v_or_b32_e32 v88, v88, v199
	v_lshlrev_b32_e32 v221, 4, v88
	v_lshrrev_b32_e32 v88, 4, v215
	v_mul_u32_u24_e32 v88, 48, v88
	v_or_b32_e32 v88, v88, v199
	v_lshlrev_b32_e32 v222, 4, v88
	ds_write_b128 v220, v[112:115]
	ds_write_b128 v220, v[128:131] offset:256
	ds_write_b128 v220, v[132:135] offset:512
	ds_write_b128 v221, v[96:99]
	ds_write_b128 v221, v[136:139] offset:256
	ds_write_b128 v221, v[140:143] offset:512
	;; [unrolled: 3-line block ×3, first 2 shown]
	s_and_saveexec_b64 s[6:7], vcc
	s_cbranch_execz .LBB0_5
; %bb.4:
	v_add_f64 v[86:87], v[86:87], v[106:107]
	v_add_f64 v[84:85], v[84:85], v[100:101]
	;; [unrolled: 1-line block ×4, first 2 shown]
	ds_write_b128 v213, v[76:79] offset:11776
	ds_write_b128 v213, v[84:87] offset:11520
	;; [unrolled: 1-line block ×3, first 2 shown]
.LBB0_5:
	s_or_b64 exec, exec, s[6:7]
	v_mov_b32_e32 v85, s3
	s_add_u32 s12, s0, 0x3000
	s_movk_i32 s0, 0xf0
	v_mov_b32_e32 v84, s2
	s_addc_u32 s13, s1, 0
	v_mad_u64_u32 v[203:204], s[0:1], v214, s0, v[84:85]
	s_waitcnt lgkmcnt(0)
	; wave barrier
	s_waitcnt lgkmcnt(0)
	ds_read_b128 v[144:147], v213
	ds_read_b128 v[96:99], v213 offset:768
	ds_read_b128 v[100:103], v213 offset:1536
	;; [unrolled: 1-line block ×15, first 2 shown]
	global_load_dwordx4 v[84:87], v[203:204], off offset:560
	global_load_dwordx4 v[88:91], v[203:204], off offset:544
	;; [unrolled: 1-line block ×4, first 2 shown]
	s_mov_b32 s2, 0x667f3bcd
	s_mov_b32 s3, 0xbfe6a09e
	;; [unrolled: 1-line block ×11, first 2 shown]
	s_waitcnt vmcnt(0) lgkmcnt(14)
	v_mul_f64 v[124:125], v[98:99], v[110:111]
	v_fma_f64 v[164:165], v[96:97], v[108:109], -v[124:125]
	v_mul_f64 v[96:97], v[96:97], v[110:111]
	v_fma_f64 v[166:167], v[98:99], v[108:109], v[96:97]
	s_waitcnt lgkmcnt(13)
	v_mul_f64 v[96:97], v[102:103], v[94:95]
	v_fma_f64 v[168:169], v[100:101], v[92:93], -v[96:97]
	v_mul_f64 v[96:97], v[100:101], v[94:95]
	v_fma_f64 v[170:171], v[102:103], v[92:93], v[96:97]
	s_waitcnt lgkmcnt(12)
	;; [unrolled: 5-line block ×3, first 2 shown]
	v_mul_f64 v[96:97], v[114:115], v[86:87]
	v_fma_f64 v[172:173], v[112:113], v[84:85], -v[96:97]
	v_mul_f64 v[96:97], v[112:113], v[86:87]
	v_fma_f64 v[174:175], v[114:115], v[84:85], v[96:97]
	global_load_dwordx4 v[96:99], v[203:204], off offset:624
	global_load_dwordx4 v[100:103], v[203:204], off offset:608
	global_load_dwordx4 v[104:107], v[203:204], off offset:592
	global_load_dwordx4 v[124:127], v[203:204], off offset:576
	s_waitcnt vmcnt(0) lgkmcnt(10)
	v_mul_f64 v[112:113], v[118:119], v[126:127]
	v_fma_f64 v[180:181], v[116:117], v[124:125], -v[112:113]
	v_mul_f64 v[112:113], v[116:117], v[126:127]
	v_fma_f64 v[182:183], v[118:119], v[124:125], v[112:113]
	s_waitcnt lgkmcnt(9)
	v_mul_f64 v[112:113], v[122:123], v[106:107]
	v_fma_f64 v[184:185], v[120:121], v[104:105], -v[112:113]
	v_mul_f64 v[112:113], v[120:121], v[106:107]
	v_fma_f64 v[186:187], v[122:123], v[104:105], v[112:113]
	s_waitcnt lgkmcnt(8)
	;; [unrolled: 5-line block ×3, first 2 shown]
	v_mul_f64 v[112:113], v[134:135], v[98:99]
	v_fma_f64 v[205:206], v[132:133], v[96:97], -v[112:113]
	v_mul_f64 v[112:113], v[132:133], v[98:99]
	v_fma_f64 v[223:224], v[134:135], v[96:97], v[112:113]
	global_load_dwordx4 v[112:115], v[203:204], off offset:688
	global_load_dwordx4 v[116:119], v[203:204], off offset:672
	;; [unrolled: 1-line block ×4, first 2 shown]
	s_waitcnt vmcnt(0) lgkmcnt(6)
	v_mul_f64 v[128:129], v[142:143], v[138:139]
	v_fma_f64 v[225:226], v[140:141], v[136:137], -v[128:129]
	v_mul_f64 v[128:129], v[140:141], v[138:139]
	v_fma_f64 v[227:228], v[142:143], v[136:137], v[128:129]
	s_waitcnt lgkmcnt(5)
	v_mul_f64 v[128:129], v[193:194], v[122:123]
	v_fma_f64 v[229:230], v[191:192], v[120:121], -v[128:129]
	v_mul_f64 v[128:129], v[191:192], v[122:123]
	v_fma_f64 v[191:192], v[193:194], v[120:121], v[128:129]
	s_waitcnt lgkmcnt(4)
	v_mul_f64 v[128:129], v[197:198], v[118:119]
	v_add_f64 v[191:192], v[170:171], -v[191:192]
	v_fma_f64 v[193:194], v[195:196], v[116:117], -v[128:129]
	v_mul_f64 v[128:129], v[195:196], v[118:119]
	v_fma_f64 v[170:171], v[170:171], 2.0, -v[191:192]
	v_add_f64 v[193:194], v[160:161], -v[193:194]
	v_fma_f64 v[195:196], v[197:198], v[116:117], v[128:129]
	s_waitcnt lgkmcnt(3)
	v_mul_f64 v[128:129], v[201:202], v[114:115]
	v_fma_f64 v[160:161], v[160:161], 2.0, -v[193:194]
	v_add_f64 v[195:196], v[162:163], -v[195:196]
	v_fma_f64 v[197:198], v[199:200], v[112:113], -v[128:129]
	v_mul_f64 v[128:129], v[199:200], v[114:115]
	v_fma_f64 v[162:163], v[162:163], 2.0, -v[195:196]
	v_add_f64 v[197:198], v[172:173], -v[197:198]
	v_fma_f64 v[199:200], v[201:202], v[112:113], v[128:129]
	global_load_dwordx4 v[128:131], v[203:204], off offset:736
	global_load_dwordx4 v[132:135], v[203:204], off offset:720
	;; [unrolled: 1-line block ×3, first 2 shown]
	v_add_f64 v[203:204], v[146:147], -v[223:224]
	v_add_f64 v[223:224], v[164:165], -v[225:226]
	v_add_f64 v[225:226], v[166:167], -v[227:228]
	v_fma_f64 v[172:173], v[172:173], 2.0, -v[197:198]
	v_add_f64 v[199:200], v[174:175], -v[199:200]
	v_fma_f64 v[146:147], v[146:147], 2.0, -v[203:204]
	v_add_f64 v[197:198], v[203:204], v[197:198]
	v_fma_f64 v[164:165], v[164:165], 2.0, -v[223:224]
	v_fma_f64 v[166:167], v[166:167], 2.0, -v[225:226]
	;; [unrolled: 1-line block ×4, first 2 shown]
	v_add_f64 v[174:175], v[146:147], -v[174:175]
	v_fma_f64 v[146:147], v[146:147], 2.0, -v[174:175]
	s_waitcnt vmcnt(0) lgkmcnt(2)
	v_mul_f64 v[201:202], v[158:159], v[142:143]
	v_fma_f64 v[201:202], v[156:157], v[140:141], -v[201:202]
	v_mul_f64 v[156:157], v[156:157], v[142:143]
	v_add_f64 v[201:202], v[180:181], -v[201:202]
	v_fma_f64 v[156:157], v[158:159], v[140:141], v[156:157]
	s_waitcnt lgkmcnt(1)
	v_mul_f64 v[158:159], v[154:155], v[134:135]
	v_fma_f64 v[180:181], v[180:181], 2.0, -v[201:202]
	v_add_f64 v[156:157], v[182:183], -v[156:157]
	v_fma_f64 v[158:159], v[152:153], v[132:133], -v[158:159]
	v_mul_f64 v[152:153], v[152:153], v[134:135]
	v_add_f64 v[201:202], v[225:226], v[201:202]
	v_add_f64 v[180:181], v[164:165], -v[180:181]
	v_fma_f64 v[182:183], v[182:183], 2.0, -v[156:157]
	v_add_f64 v[158:159], v[184:185], -v[158:159]
	v_fma_f64 v[152:153], v[154:155], v[132:133], v[152:153]
	s_waitcnt lgkmcnt(0)
	v_mul_f64 v[154:155], v[150:151], v[130:131]
	v_add_f64 v[156:157], v[223:224], -v[156:157]
	v_fma_f64 v[225:226], v[225:226], 2.0, -v[201:202]
	v_fma_f64 v[164:165], v[164:165], 2.0, -v[180:181]
	v_add_f64 v[182:183], v[166:167], -v[182:183]
	v_fma_f64 v[184:185], v[184:185], 2.0, -v[158:159]
	v_add_f64 v[152:153], v[186:187], -v[152:153]
	v_fma_f64 v[154:155], v[148:149], v[128:129], -v[154:155]
	v_mul_f64 v[148:149], v[148:149], v[130:131]
	v_add_f64 v[158:159], v[191:192], v[158:159]
	v_fma_f64 v[223:224], v[223:224], 2.0, -v[156:157]
	v_fma_f64 v[166:167], v[166:167], 2.0, -v[182:183]
	;; [unrolled: 1-line block ×3, first 2 shown]
	v_add_f64 v[154:155], v[176:177], -v[154:155]
	v_fma_f64 v[148:149], v[150:151], v[128:129], v[148:149]
	v_add_f64 v[150:151], v[144:145], -v[205:206]
	v_add_f64 v[205:206], v[168:169], -v[229:230]
	v_fma_f64 v[191:192], v[191:192], 2.0, -v[158:159]
	v_add_f64 v[186:187], v[170:171], -v[186:187]
	v_fma_f64 v[176:177], v[176:177], 2.0, -v[154:155]
	;; [unrolled: 2-line block ×3, first 2 shown]
	v_fma_f64 v[168:169], v[168:169], 2.0, -v[205:206]
	v_add_f64 v[199:200], v[150:151], -v[199:200]
	v_add_f64 v[152:153], v[205:206], -v[152:153]
	v_add_f64 v[154:155], v[195:196], v[154:155]
	v_fma_f64 v[170:171], v[170:171], 2.0, -v[186:187]
	v_add_f64 v[176:177], v[160:161], -v[176:177]
	v_fma_f64 v[178:179], v[178:179], 2.0, -v[148:149]
	v_add_f64 v[172:173], v[144:145], -v[172:173]
	v_add_f64 v[184:185], v[168:169], -v[184:185]
	v_fma_f64 v[150:151], v[150:151], 2.0, -v[199:200]
	v_fma_f64 v[205:206], v[205:206], 2.0, -v[152:153]
	v_add_f64 v[148:149], v[193:194], -v[148:149]
	v_add_f64 v[229:230], v[146:147], -v[170:171]
	v_fma_f64 v[160:161], v[160:161], 2.0, -v[176:177]
	v_add_f64 v[178:179], v[162:163], -v[178:179]
	v_fma_f64 v[144:145], v[144:145], 2.0, -v[172:173]
	v_fma_f64 v[168:169], v[168:169], 2.0, -v[184:185]
	;; [unrolled: 1-line block ×3, first 2 shown]
	v_add_f64 v[233:234], v[172:173], -v[186:187]
	v_fma_f64 v[193:194], v[193:194], 2.0, -v[148:149]
	v_fma_f64 v[170:171], v[146:147], 2.0, -v[229:230]
	v_fma_f64 v[146:147], v[191:192], s[2:3], v[203:204]
	v_fma_f64 v[162:163], v[162:163], 2.0, -v[178:179]
	v_add_f64 v[235:236], v[174:175], v[184:185]
	v_add_f64 v[227:228], v[144:145], -v[168:169]
	v_fma_f64 v[172:173], v[172:173], 2.0, -v[233:234]
	v_fma_f64 v[174:175], v[174:175], 2.0, -v[235:236]
	;; [unrolled: 1-line block ×3, first 2 shown]
	v_fma_f64 v[144:145], v[205:206], s[2:3], v[150:151]
	v_fma_f64 v[205:206], v[205:206], s[6:7], v[146:147]
	v_fma_f64 v[146:147], v[158:159], s[6:7], v[197:198]
	v_fma_f64 v[191:192], v[191:192], s[2:3], v[144:145]
	v_fma_f64 v[144:145], v[152:153], s[6:7], v[199:200]
	v_fma_f64 v[239:240], v[152:153], s[6:7], v[146:147]
	v_fma_f64 v[152:153], v[195:196], s[2:3], v[225:226]
	v_fma_f64 v[203:204], v[203:204], 2.0, -v[205:206]
	v_fma_f64 v[231:232], v[150:151], 2.0, -v[191:192]
	v_fma_f64 v[237:238], v[158:159], s[2:3], v[144:145]
	v_fma_f64 v[186:187], v[197:198], 2.0, -v[239:240]
	v_add_f64 v[197:198], v[164:165], -v[160:161]
	v_fma_f64 v[150:151], v[193:194], s[2:3], v[223:224]
	v_fma_f64 v[193:194], v[193:194], s[6:7], v[152:153]
	v_fma_f64 v[184:185], v[199:200], 2.0, -v[237:238]
	v_add_f64 v[199:200], v[166:167], -v[162:163]
	v_fma_f64 v[144:145], v[164:165], 2.0, -v[197:198]
	v_fma_f64 v[164:165], v[154:155], s[6:7], v[201:202]
	v_fma_f64 v[195:196], v[195:196], s[2:3], v[150:151]
	v_fma_f64 v[152:153], v[225:226], 2.0, -v[193:194]
	v_add_f64 v[225:226], v[182:183], v[176:177]
	v_fma_f64 v[150:151], v[148:149], s[6:7], v[156:157]
	v_fma_f64 v[146:147], v[166:167], 2.0, -v[199:200]
	v_add_f64 v[144:145], v[168:169], -v[144:145]
	v_fma_f64 v[243:244], v[148:149], s[6:7], v[164:165]
	v_fma_f64 v[158:159], v[223:224], 2.0, -v[195:196]
	v_add_f64 v[223:224], v[180:181], -v[178:179]
	v_fma_f64 v[160:161], v[182:183], 2.0, -v[225:226]
	v_fma_f64 v[241:242], v[154:155], s[2:3], v[150:151]
	v_add_f64 v[146:147], v[170:171], -v[146:147]
	v_fma_f64 v[148:149], v[168:169], 2.0, -v[144:145]
	v_fma_f64 v[178:179], v[201:202], 2.0, -v[243:244]
	v_fma_f64 v[154:155], v[158:159], s[18:19], v[231:232]
	v_fma_f64 v[162:163], v[180:181], 2.0, -v[223:224]
	v_fma_f64 v[166:167], v[160:161], s[2:3], v[174:175]
	;; [unrolled: 2-line block ×4, first 2 shown]
	v_fma_f64 v[152:153], v[152:153], s[14:15], v[154:155]
	v_fma_f64 v[164:165], v[162:163], s[2:3], v[172:173]
	;; [unrolled: 1-line block ×6, first 2 shown]
	v_add_f64 v[176:177], v[227:228], -v[199:200]
	v_fma_f64 v[160:161], v[160:161], s[2:3], v[164:165]
	v_fma_f64 v[166:167], v[174:175], 2.0, -v[162:163]
	v_fma_f64 v[168:169], v[178:179], s[18:19], v[168:169]
	v_add_f64 v[178:179], v[229:230], v[197:198]
	v_fma_f64 v[197:198], v[225:226], s[6:7], v[235:236]
	v_fma_f64 v[158:159], v[203:204], 2.0, -v[154:155]
	v_fma_f64 v[174:175], v[186:187], 2.0, -v[170:171]
	v_fma_f64 v[186:187], v[193:194], s[16:17], v[205:206]
	v_fma_f64 v[164:165], v[172:173], 2.0, -v[160:161]
	v_fma_f64 v[203:204], v[241:242], s[20:21], v[237:238]
	;; [unrolled: 2-line block ×3, first 2 shown]
	v_fma_f64 v[197:198], v[223:224], s[6:7], v[197:198]
	v_fma_f64 v[156:157], v[231:232], 2.0, -v[152:153]
	v_fma_f64 v[180:181], v[227:228], 2.0, -v[176:177]
	v_fma_f64 v[186:187], v[195:196], s[20:21], v[186:187]
	v_fma_f64 v[195:196], v[223:224], s[6:7], v[233:234]
	;; [unrolled: 1-line block ×3, first 2 shown]
	v_fma_f64 v[182:183], v[229:230], 2.0, -v[178:179]
	v_fma_f64 v[184:185], v[193:194], s[18:19], v[184:185]
	v_fma_f64 v[201:202], v[235:236], 2.0, -v[197:198]
	v_fma_f64 v[193:194], v[205:206], 2.0, -v[186:187]
	v_fma_f64 v[205:206], v[243:244], s[20:21], v[239:240]
	v_fma_f64 v[195:196], v[225:226], s[2:3], v[195:196]
	v_fma_f64 v[223:224], v[237:238], 2.0, -v[203:204]
	v_fma_f64 v[191:192], v[191:192], 2.0, -v[184:185]
	v_fma_f64 v[205:206], v[241:242], s[16:17], v[205:206]
	v_fma_f64 v[199:200], v[233:234], 2.0, -v[195:196]
	v_fma_f64 v[225:226], v[239:240], 2.0, -v[205:206]
	ds_write_b128 v213, v[148:151]
	ds_write_b128 v213, v[156:159] offset:768
	ds_write_b128 v213, v[164:167] offset:1536
	;; [unrolled: 1-line block ×15, first 2 shown]
	v_lshlrev_b32_e32 v158, 4, v214
	s_waitcnt lgkmcnt(0)
	; wave barrier
	s_waitcnt lgkmcnt(0)
	global_load_dwordx4 v[150:153], v158, s[12:13]
	ds_read_b128 v[146:149], v213
	v_add_co_u32_e64 v144, s[0:1], s12, v158
	v_mov_b32_e32 v145, s13
	v_addc_co_u32_e64 v145, s[0:1], 0, v145, s[0:1]
	s_movk_i32 s0, 0x1000
	s_waitcnt vmcnt(0) lgkmcnt(0)
	v_mul_f64 v[154:155], v[148:149], v[152:153]
	v_fma_f64 v[154:155], v[146:147], v[150:151], -v[154:155]
	v_mul_f64 v[146:147], v[146:147], v[152:153]
	v_fma_f64 v[156:157], v[148:149], v[150:151], v[146:147]
	global_load_dwordx4 v[150:153], v158, s[12:13] offset:768
	ds_read_b128 v[146:149], v213 offset:768
	ds_write_b128 v213, v[154:157]
	s_waitcnt vmcnt(0) lgkmcnt(1)
	v_mul_f64 v[154:155], v[148:149], v[152:153]
	v_fma_f64 v[154:155], v[146:147], v[150:151], -v[154:155]
	v_mul_f64 v[146:147], v[146:147], v[152:153]
	v_fma_f64 v[156:157], v[148:149], v[150:151], v[146:147]
	global_load_dwordx4 v[150:153], v158, s[12:13] offset:1536
	ds_read_b128 v[146:149], v213 offset:1536
	ds_write_b128 v213, v[154:157] offset:768
	s_waitcnt vmcnt(0) lgkmcnt(1)
	v_mul_f64 v[154:155], v[148:149], v[152:153]
	v_fma_f64 v[154:155], v[146:147], v[150:151], -v[154:155]
	v_mul_f64 v[146:147], v[146:147], v[152:153]
	v_fma_f64 v[156:157], v[148:149], v[150:151], v[146:147]
	global_load_dwordx4 v[150:153], v158, s[12:13] offset:2304
	ds_read_b128 v[146:149], v213 offset:2304
	ds_write_b128 v213, v[154:157] offset:1536
	;; [unrolled: 8-line block ×3, first 2 shown]
	s_waitcnt vmcnt(0) lgkmcnt(1)
	v_mul_f64 v[154:155], v[148:149], v[152:153]
	v_fma_f64 v[154:155], v[146:147], v[150:151], -v[154:155]
	v_mul_f64 v[146:147], v[146:147], v[152:153]
	v_fma_f64 v[156:157], v[148:149], v[150:151], v[146:147]
	global_load_dwordx4 v[150:153], v158, s[12:13] offset:3840
	ds_read_b128 v[146:149], v213 offset:3840
	v_add_co_u32_e64 v158, s[0:1], s0, v144
	v_addc_co_u32_e64 v159, s[0:1], 0, v145, s[0:1]
	s_movk_i32 s0, 0x2000
	ds_write_b128 v213, v[154:157] offset:3072
	s_waitcnt vmcnt(0) lgkmcnt(1)
	v_mul_f64 v[154:155], v[148:149], v[152:153]
	v_fma_f64 v[154:155], v[146:147], v[150:151], -v[154:155]
	v_mul_f64 v[146:147], v[146:147], v[152:153]
	v_fma_f64 v[156:157], v[148:149], v[150:151], v[146:147]
	global_load_dwordx4 v[150:153], v[158:159], off offset:512
	ds_read_b128 v[146:149], v213 offset:4608
	ds_write_b128 v213, v[154:157] offset:3840
	s_waitcnt vmcnt(0) lgkmcnt(1)
	v_mul_f64 v[154:155], v[148:149], v[152:153]
	v_fma_f64 v[154:155], v[146:147], v[150:151], -v[154:155]
	v_mul_f64 v[146:147], v[146:147], v[152:153]
	v_fma_f64 v[156:157], v[148:149], v[150:151], v[146:147]
	global_load_dwordx4 v[150:153], v[158:159], off offset:1280
	ds_read_b128 v[146:149], v213 offset:5376
	ds_write_b128 v213, v[154:157] offset:4608
	s_waitcnt vmcnt(0) lgkmcnt(1)
	v_mul_f64 v[154:155], v[148:149], v[152:153]
	v_fma_f64 v[154:155], v[146:147], v[150:151], -v[154:155]
	v_mul_f64 v[146:147], v[146:147], v[152:153]
	v_fma_f64 v[156:157], v[148:149], v[150:151], v[146:147]
	global_load_dwordx4 v[150:153], v190, s[12:13]
	ds_read_b128 v[146:149], v213 offset:6144
	ds_write_b128 v213, v[154:157] offset:5376
	s_waitcnt vmcnt(0) lgkmcnt(1)
	v_mul_f64 v[154:155], v[148:149], v[152:153]
	v_fma_f64 v[154:155], v[146:147], v[150:151], -v[154:155]
	v_mul_f64 v[146:147], v[146:147], v[152:153]
	v_fma_f64 v[156:157], v[148:149], v[150:151], v[146:147]
	global_load_dwordx4 v[150:153], v[158:159], off offset:2816
	ds_read_b128 v[146:149], v213 offset:6912
	ds_write_b128 v213, v[154:157] offset:6144
	s_waitcnt vmcnt(0) lgkmcnt(1)
	v_mul_f64 v[154:155], v[148:149], v[152:153]
	v_fma_f64 v[154:155], v[146:147], v[150:151], -v[154:155]
	v_mul_f64 v[146:147], v[146:147], v[152:153]
	v_fma_f64 v[156:157], v[148:149], v[150:151], v[146:147]
	global_load_dwordx4 v[150:153], v[158:159], off offset:3584
	ds_read_b128 v[146:149], v213 offset:7680
	ds_write_b128 v213, v[154:157] offset:6912
	s_waitcnt vmcnt(0) lgkmcnt(1)
	v_mul_f64 v[154:155], v[148:149], v[152:153]
	v_fma_f64 v[154:155], v[146:147], v[150:151], -v[154:155]
	v_mul_f64 v[146:147], v[146:147], v[152:153]
	v_fma_f64 v[156:157], v[148:149], v[150:151], v[146:147]
	ds_read_b128 v[146:149], v213 offset:8448
	ds_write_b128 v213, v[154:157] offset:7680
	v_add_co_u32_e64 v156, s[0:1], s0, v144
	v_addc_co_u32_e64 v157, s[0:1], 0, v145, s[0:1]
	global_load_dwordx4 v[150:153], v[156:157], off offset:256
	s_waitcnt vmcnt(0) lgkmcnt(1)
	v_mul_f64 v[144:145], v[148:149], v[152:153]
	v_fma_f64 v[144:145], v[146:147], v[150:151], -v[144:145]
	v_mul_f64 v[146:147], v[146:147], v[152:153]
	v_fma_f64 v[146:147], v[148:149], v[150:151], v[146:147]
	global_load_dwordx4 v[148:151], v189, s[12:13]
	ds_write_b128 v213, v[144:147] offset:8448
	ds_read_b128 v[144:147], v213 offset:9216
	s_waitcnt vmcnt(0) lgkmcnt(0)
	v_mul_f64 v[152:153], v[146:147], v[150:151]
	v_fma_f64 v[152:153], v[144:145], v[148:149], -v[152:153]
	v_mul_f64 v[144:145], v[144:145], v[150:151]
	v_fma_f64 v[154:155], v[146:147], v[148:149], v[144:145]
	global_load_dwordx4 v[148:151], v[156:157], off offset:1792
	ds_read_b128 v[144:147], v213 offset:9984
	ds_write_b128 v213, v[152:155] offset:9216
	s_waitcnt vmcnt(0) lgkmcnt(1)
	v_mul_f64 v[152:153], v[146:147], v[150:151]
	v_fma_f64 v[152:153], v[144:145], v[148:149], -v[152:153]
	v_mul_f64 v[144:145], v[144:145], v[150:151]
	v_fma_f64 v[154:155], v[146:147], v[148:149], v[144:145]
	global_load_dwordx4 v[148:151], v[156:157], off offset:2560
	ds_read_b128 v[144:147], v213 offset:10752
	ds_write_b128 v213, v[152:155] offset:9984
	;; [unrolled: 8-line block ×3, first 2 shown]
	s_waitcnt vmcnt(0) lgkmcnt(1)
	v_mul_f64 v[152:153], v[146:147], v[150:151]
	v_fma_f64 v[152:153], v[144:145], v[148:149], -v[152:153]
	v_mul_f64 v[144:145], v[144:145], v[150:151]
	v_fma_f64 v[154:155], v[146:147], v[148:149], v[144:145]
	ds_write_b128 v213, v[152:155] offset:11520
	s_waitcnt lgkmcnt(0)
	; wave barrier
	s_waitcnt lgkmcnt(0)
	ds_read_b128 v[144:147], v213
	ds_read_b128 v[148:151], v213 offset:768
	ds_read_b128 v[152:155], v213 offset:1536
	;; [unrolled: 1-line block ×15, first 2 shown]
	s_waitcnt lgkmcnt(7)
	v_add_f64 v[176:177], v[144:145], -v[176:177]
	v_add_f64 v[178:179], v[146:147], -v[178:179]
	s_waitcnt lgkmcnt(3)
	v_add_f64 v[193:194], v[160:161], -v[193:194]
	v_add_f64 v[195:196], v[162:163], -v[195:196]
	;; [unrolled: 1-line block ×4, first 2 shown]
	s_waitcnt lgkmcnt(1)
	v_add_f64 v[201:202], v[168:169], -v[201:202]
	v_add_f64 v[203:204], v[170:171], -v[203:204]
	v_fma_f64 v[144:145], v[144:145], 2.0, -v[176:177]
	v_fma_f64 v[146:147], v[146:147], 2.0, -v[178:179]
	;; [unrolled: 1-line block ×8, first 2 shown]
	v_add_f64 v[195:196], v[176:177], v[195:196]
	v_add_f64 v[193:194], v[178:179], -v[193:194]
	v_add_f64 v[160:161], v[144:145], -v[160:161]
	;; [unrolled: 1-line block ×3, first 2 shown]
	v_add_f64 v[203:204], v[184:185], v[203:204]
	v_add_f64 v[201:202], v[186:187], -v[201:202]
	v_add_f64 v[168:169], v[152:153], -v[168:169]
	v_add_f64 v[170:171], v[154:155], -v[170:171]
	v_add_f64 v[180:181], v[148:149], -v[180:181]
	v_add_f64 v[182:183], v[150:151], -v[182:183]
	v_add_f64 v[197:198], v[164:165], -v[197:198]
	v_add_f64 v[199:200], v[166:167], -v[199:200]
	v_add_f64 v[189:190], v[156:157], -v[189:190]
	v_add_f64 v[191:192], v[158:159], -v[191:192]
	s_waitcnt lgkmcnt(0)
	v_add_f64 v[205:206], v[172:173], -v[223:224]
	v_add_f64 v[223:224], v[174:175], -v[225:226]
	v_fma_f64 v[144:145], v[144:145], 2.0, -v[160:161]
	v_fma_f64 v[146:147], v[146:147], 2.0, -v[162:163]
	;; [unrolled: 1-line block ×16, first 2 shown]
	v_add_f64 v[225:226], v[144:145], -v[152:153]
	v_add_f64 v[227:228], v[146:147], -v[154:155]
	v_fma_f64 v[152:153], v[184:185], s[2:3], v[176:177]
	v_fma_f64 v[154:155], v[186:187], s[2:3], v[178:179]
	v_add_f64 v[164:165], v[148:149], -v[164:165]
	v_add_f64 v[166:167], v[150:151], -v[166:167]
	v_add_f64 v[199:200], v[180:181], v[199:200]
	v_add_f64 v[197:198], v[182:183], -v[197:198]
	v_add_f64 v[172:173], v[156:157], -v[172:173]
	;; [unrolled: 1-line block ×3, first 2 shown]
	v_add_f64 v[223:224], v[189:190], v[223:224]
	v_add_f64 v[205:206], v[191:192], -v[205:206]
	v_fma_f64 v[229:230], v[186:187], s[6:7], v[152:153]
	v_fma_f64 v[231:232], v[184:185], s[2:3], v[154:155]
	;; [unrolled: 1-line block ×4, first 2 shown]
	v_fma_f64 v[148:149], v[148:149], 2.0, -v[164:165]
	v_fma_f64 v[150:151], v[150:151], 2.0, -v[166:167]
	;; [unrolled: 1-line block ×8, first 2 shown]
	v_fma_f64 v[237:238], v[201:202], s[6:7], v[152:153]
	v_fma_f64 v[239:240], v[203:204], s[2:3], v[154:155]
	v_fma_f64 v[144:145], v[144:145], 2.0, -v[225:226]
	v_fma_f64 v[146:147], v[146:147], 2.0, -v[227:228]
	;; [unrolled: 1-line block ×4, first 2 shown]
	v_fma_f64 v[152:153], v[189:190], s[2:3], v[180:181]
	v_fma_f64 v[154:155], v[191:192], s[2:3], v[182:183]
	v_fma_f64 v[184:185], v[195:196], 2.0, -v[237:238]
	v_fma_f64 v[186:187], v[193:194], 2.0, -v[239:240]
	v_add_f64 v[193:194], v[148:149], -v[156:157]
	v_add_f64 v[195:196], v[150:151], -v[158:159]
	v_add_f64 v[233:234], v[160:161], v[170:171]
	v_add_f64 v[235:236], v[162:163], -v[168:169]
	v_fma_f64 v[191:192], v[191:192], s[6:7], v[152:153]
	v_fma_f64 v[189:190], v[189:190], s[2:3], v[154:155]
	v_add_f64 v[201:202], v[164:165], v[174:175]
	v_add_f64 v[203:204], v[166:167], -v[172:173]
	v_fma_f64 v[148:149], v[148:149], 2.0, -v[193:194]
	v_fma_f64 v[150:151], v[150:151], 2.0, -v[195:196]
	v_fma_f64 v[152:153], v[223:224], s[6:7], v[199:200]
	v_fma_f64 v[154:155], v[205:206], s[6:7], v[197:198]
	v_fma_f64 v[158:159], v[180:181], 2.0, -v[191:192]
	v_fma_f64 v[156:157], v[182:183], 2.0, -v[189:190]
	;; [unrolled: 1-line block ×4, first 2 shown]
	v_add_f64 v[148:149], v[144:145], -v[148:149]
	v_add_f64 v[150:151], v[146:147], -v[150:151]
	v_fma_f64 v[172:173], v[164:165], 2.0, -v[201:202]
	v_fma_f64 v[164:165], v[166:167], 2.0, -v[203:204]
	v_fma_f64 v[205:206], v[205:206], s[6:7], v[152:153]
	v_fma_f64 v[223:224], v[223:224], s[2:3], v[154:155]
	v_add_f64 v[182:183], v[227:228], -v[193:194]
	v_fma_f64 v[152:153], v[144:145], 2.0, -v[148:149]
	v_fma_f64 v[154:155], v[146:147], 2.0, -v[150:151]
	v_fma_f64 v[144:145], v[158:159], s[18:19], v[176:177]
	v_fma_f64 v[146:147], v[156:157], s[18:19], v[178:179]
	v_fma_f64 v[174:175], v[199:200], 2.0, -v[205:206]
	v_fma_f64 v[180:181], v[197:198], 2.0, -v[223:224]
	; wave barrier
	v_fma_f64 v[156:157], v[156:157], s[16:17], v[144:145]
	v_fma_f64 v[158:159], v[158:159], s[14:15], v[146:147]
	;; [unrolled: 1-line block ×4, first 2 shown]
	v_fma_f64 v[160:161], v[176:177], 2.0, -v[156:157]
	v_fma_f64 v[162:163], v[178:179], 2.0, -v[158:159]
	v_fma_f64 v[164:165], v[164:165], s[6:7], v[144:145]
	v_fma_f64 v[166:167], v[172:173], s[2:3], v[146:147]
	;; [unrolled: 1-line block ×4, first 2 shown]
	v_fma_f64 v[168:169], v[168:169], 2.0, -v[164:165]
	v_fma_f64 v[170:171], v[170:171], 2.0, -v[166:167]
	v_fma_f64 v[172:173], v[180:181], s[20:21], v[144:145]
	v_fma_f64 v[174:175], v[174:175], s[18:19], v[146:147]
	;; [unrolled: 1-line block ×4, first 2 shown]
	v_add_f64 v[180:181], v[225:226], v[195:196]
	v_fma_f64 v[176:177], v[184:185], 2.0, -v[172:173]
	v_fma_f64 v[178:179], v[186:187], 2.0, -v[174:175]
	v_fma_f64 v[189:190], v[189:190], s[20:21], v[144:145]
	v_fma_f64 v[191:192], v[191:192], s[18:19], v[146:147]
	;; [unrolled: 1-line block ×4, first 2 shown]
	v_fma_f64 v[184:185], v[225:226], 2.0, -v[180:181]
	v_fma_f64 v[186:187], v[227:228], 2.0, -v[182:183]
	;; [unrolled: 1-line block ×4, first 2 shown]
	v_fma_f64 v[197:198], v[203:204], s[6:7], v[144:145]
	v_fma_f64 v[199:200], v[201:202], s[2:3], v[146:147]
	;; [unrolled: 1-line block ×4, first 2 shown]
	v_fma_f64 v[201:202], v[233:234], 2.0, -v[197:198]
	v_fma_f64 v[203:204], v[235:236], 2.0, -v[199:200]
	v_fma_f64 v[144:145], v[223:224], s[16:17], v[144:145]
	v_fma_f64 v[146:147], v[205:206], s[14:15], v[146:147]
	v_fma_f64 v[223:224], v[237:238], 2.0, -v[144:145]
	v_fma_f64 v[225:226], v[239:240], 2.0, -v[146:147]
	ds_write_b128 v188, v[152:155]
	ds_write_b128 v188, v[160:163] offset:16
	ds_write_b128 v188, v[168:171] offset:32
	;; [unrolled: 1-line block ×15, first 2 shown]
	s_waitcnt lgkmcnt(0)
	; wave barrier
	s_waitcnt lgkmcnt(0)
	ds_read_b128 v[164:167], v213
	ds_read_b128 v[200:203], v213 offset:4096
	ds_read_b128 v[196:199], v213 offset:8192
	ds_read_b128 v[160:163], v213 offset:768
	ds_read_b128 v[204:207], v213 offset:4864
	ds_read_b128 v[184:187], v213 offset:8960
	ds_read_b128 v[156:159], v213 offset:1536
	ds_read_b128 v[192:195], v213 offset:5632
	ds_read_b128 v[180:183], v213 offset:9728
	ds_read_b128 v[148:151], v213 offset:2304
	ds_read_b128 v[188:191], v213 offset:6400
	ds_read_b128 v[168:171], v213 offset:10496
	ds_read_b128 v[152:155], v213 offset:3072
	ds_read_b128 v[176:179], v213 offset:7168
	ds_read_b128 v[172:175], v213 offset:11264
	s_and_saveexec_b64 s[0:1], vcc
	s_cbranch_execz .LBB0_7
; %bb.6:
	ds_read_b128 v[144:147], v213 offset:3840
	ds_read_b128 v[76:79], v213 offset:7936
	;; [unrolled: 1-line block ×3, first 2 shown]
.LBB0_7:
	s_or_b64 exec, exec, s[0:1]
	s_waitcnt lgkmcnt(13)
	v_mul_f64 v[225:226], v[66:67], v[200:201]
	v_mul_f64 v[223:224], v[66:67], v[202:203]
	s_waitcnt lgkmcnt(12)
	v_mul_f64 v[227:228], v[70:71], v[198:199]
	v_mul_f64 v[229:230], v[70:71], v[196:197]
	;; [unrolled: 3-line block ×3, first 2 shown]
	s_waitcnt lgkmcnt(9)
	v_mul_f64 v[235:236], v[70:71], v[186:187]
	s_mov_b32 s0, 0xe8584caa
	v_fma_f64 v[202:203], v[211:212], v[202:203], -v[225:226]
	s_waitcnt lgkmcnt(7)
	v_mul_f64 v[225:226], v[66:67], v[194:195]
	v_fma_f64 v[200:201], v[211:212], v[200:201], v[223:224]
	v_fma_f64 v[196:197], v[74:75], v[196:197], v[227:228]
	v_fma_f64 v[198:199], v[74:75], v[198:199], -v[229:230]
	v_fma_f64 v[204:205], v[211:212], v[204:205], v[231:232]
	v_mul_f64 v[223:224], v[70:71], v[184:185]
	v_fma_f64 v[206:207], v[211:212], v[206:207], -v[233:234]
	v_mul_f64 v[227:228], v[66:67], v[192:193]
	s_waitcnt lgkmcnt(6)
	v_mul_f64 v[229:230], v[70:71], v[182:183]
	v_mul_f64 v[231:232], v[70:71], v[180:181]
	s_waitcnt lgkmcnt(4)
	v_mul_f64 v[233:234], v[66:67], v[190:191]
	v_fma_f64 v[192:193], v[211:212], v[192:193], v[225:226]
	s_waitcnt lgkmcnt(3)
	v_mul_f64 v[225:226], v[70:71], v[170:171]
	v_fma_f64 v[186:187], v[74:75], v[186:187], -v[223:224]
	v_mul_f64 v[223:224], v[66:67], v[188:189]
	v_fma_f64 v[194:195], v[211:212], v[194:195], -v[227:228]
	v_fma_f64 v[227:228], v[74:75], v[180:181], v[229:230]
	v_fma_f64 v[229:230], v[74:75], v[182:183], -v[231:232]
	v_fma_f64 v[231:232], v[211:212], v[188:189], v[233:234]
	v_mul_f64 v[180:181], v[70:71], v[168:169]
	s_waitcnt lgkmcnt(1)
	v_mul_f64 v[182:183], v[66:67], v[178:179]
	v_add_f64 v[188:189], v[200:201], v[196:197]
	v_fma_f64 v[225:226], v[74:75], v[168:169], v[225:226]
	v_mul_f64 v[66:67], v[66:67], v[176:177]
	s_waitcnt lgkmcnt(0)
	v_mul_f64 v[168:169], v[70:71], v[174:175]
	v_mul_f64 v[70:71], v[70:71], v[172:173]
	v_fma_f64 v[184:185], v[74:75], v[184:185], v[235:236]
	v_fma_f64 v[223:224], v[211:212], v[190:191], -v[223:224]
	v_fma_f64 v[233:234], v[74:75], v[170:171], -v[180:181]
	v_add_f64 v[170:171], v[164:165], v[200:201]
	v_fma_f64 v[235:236], v[211:212], v[176:177], v[182:183]
	v_fma_f64 v[176:177], v[188:189], -0.5, v[164:165]
	v_add_f64 v[180:181], v[202:203], -v[198:199]
	v_fma_f64 v[66:67], v[211:212], v[178:179], -v[66:67]
	v_fma_f64 v[211:212], v[74:75], v[172:173], v[168:169]
	v_fma_f64 v[70:71], v[74:75], v[174:175], -v[70:71]
	v_add_f64 v[74:75], v[202:203], v[198:199]
	s_mov_b32 s1, 0xbfebb67a
	s_mov_b32 s3, 0x3febb67a
	;; [unrolled: 1-line block ×3, first 2 shown]
	v_add_f64 v[164:165], v[170:171], v[196:197]
	v_fma_f64 v[168:169], v[180:181], s[0:1], v[176:177]
	v_add_f64 v[170:171], v[166:167], v[202:203]
	v_add_f64 v[174:175], v[204:205], v[184:185]
	v_fma_f64 v[74:75], v[74:75], -0.5, v[166:167]
	v_add_f64 v[178:179], v[200:201], -v[196:197]
	v_fma_f64 v[172:173], v[180:181], s[2:3], v[176:177]
	v_add_f64 v[176:177], v[160:161], v[204:205]
	v_add_f64 v[180:181], v[206:207], v[186:187]
	;; [unrolled: 1-line block ×4, first 2 shown]
	v_fma_f64 v[182:183], v[174:175], -0.5, v[160:161]
	v_add_f64 v[188:189], v[206:207], -v[186:187]
	v_fma_f64 v[170:171], v[178:179], s[2:3], v[74:75]
	v_fma_f64 v[174:175], v[178:179], s[0:1], v[74:75]
	v_add_f64 v[160:161], v[176:177], v[184:185]
	v_add_f64 v[74:75], v[192:193], v[227:228]
	v_fma_f64 v[196:197], v[180:181], -0.5, v[162:163]
	v_add_f64 v[184:185], v[204:205], -v[184:185]
	v_add_f64 v[162:163], v[190:191], v[186:187]
	v_add_f64 v[186:187], v[194:195], v[229:230]
	;; [unrolled: 1-line block ×3, first 2 shown]
	v_fma_f64 v[176:177], v[188:189], s[0:1], v[182:183]
	v_fma_f64 v[180:181], v[188:189], s[2:3], v[182:183]
	v_add_f64 v[188:189], v[156:157], v[192:193]
	v_fma_f64 v[74:75], v[74:75], -0.5, v[156:157]
	v_add_f64 v[190:191], v[194:195], -v[229:230]
	v_fma_f64 v[178:179], v[184:185], s[2:3], v[196:197]
	v_fma_f64 v[182:183], v[184:185], s[0:1], v[196:197]
	v_add_f64 v[194:195], v[158:159], v[194:195]
	v_fma_f64 v[196:197], v[186:187], -0.5, v[158:159]
	v_add_f64 v[192:193], v[192:193], -v[227:228]
	v_fma_f64 v[198:199], v[198:199], -0.5, v[148:149]
	v_add_f64 v[202:203], v[223:224], -v[233:234]
	v_add_f64 v[156:157], v[188:189], v[227:228]
	v_fma_f64 v[184:185], v[190:191], s[0:1], v[74:75]
	v_add_f64 v[200:201], v[148:149], v[231:232]
	v_fma_f64 v[188:189], v[190:191], s[2:3], v[74:75]
	;; [unrolled: 2-line block ×5, first 2 shown]
	v_fma_f64 v[196:197], v[202:203], s[2:3], v[198:199]
	v_add_f64 v[198:199], v[66:67], v[70:71]
	v_add_f64 v[148:149], v[200:201], v[225:226]
	;; [unrolled: 1-line block ×3, first 2 shown]
	v_fma_f64 v[74:75], v[74:75], -0.5, v[150:151]
	v_add_f64 v[202:203], v[231:232], -v[225:226]
	v_add_f64 v[204:205], v[152:153], v[235:236]
	v_fma_f64 v[206:207], v[194:195], -0.5, v[152:153]
	v_add_f64 v[223:224], v[66:67], -v[70:71]
	v_add_f64 v[66:67], v[154:155], v[66:67]
	;; [unrolled: 3-line block ×3, first 2 shown]
	v_fma_f64 v[194:195], v[202:203], s[2:3], v[74:75]
	v_fma_f64 v[198:199], v[202:203], s[0:1], v[74:75]
	v_add_f64 v[152:153], v[204:205], v[211:212]
	v_fma_f64 v[200:201], v[223:224], s[0:1], v[206:207]
	v_fma_f64 v[204:205], v[223:224], s[2:3], v[206:207]
	v_add_f64 v[154:155], v[66:67], v[70:71]
	v_fma_f64 v[202:203], v[227:228], s[2:3], v[225:226]
	v_fma_f64 v[206:207], v[227:228], s[0:1], v[225:226]
	s_waitcnt lgkmcnt(0)
	; wave barrier
	ds_write_b128 v218, v[164:167]
	ds_write_b128 v218, v[168:171] offset:256
	ds_write_b128 v218, v[172:175] offset:512
	ds_write_b128 v219, v[160:163]
	ds_write_b128 v219, v[176:179] offset:256
	ds_write_b128 v219, v[180:183] offset:512
	;; [unrolled: 3-line block ×5, first 2 shown]
	s_and_saveexec_b64 s[6:7], vcc
	s_cbranch_execz .LBB0_9
; %bb.8:
	v_mul_f64 v[66:67], v[72:73], v[76:77]
	v_mul_f64 v[70:71], v[209:210], v[80:81]
	;; [unrolled: 1-line block ×4, first 2 shown]
	v_fma_f64 v[66:67], v[64:65], v[78:79], -v[66:67]
	v_fma_f64 v[70:71], v[68:69], v[82:83], -v[70:71]
	v_fma_f64 v[64:65], v[64:65], v[76:77], v[72:73]
	v_fma_f64 v[68:69], v[68:69], v[80:81], v[74:75]
	v_add_f64 v[78:79], v[146:147], v[66:67]
	v_add_f64 v[72:73], v[66:67], v[70:71]
	v_add_f64 v[80:81], v[66:67], -v[70:71]
	v_add_f64 v[74:75], v[64:65], v[68:69]
	v_add_f64 v[76:77], v[64:65], -v[68:69]
	v_add_f64 v[64:65], v[144:145], v[64:65]
	v_add_f64 v[66:67], v[78:79], v[70:71]
	v_fma_f64 v[72:73], v[72:73], -0.5, v[146:147]
	v_fma_f64 v[82:83], v[74:75], -0.5, v[144:145]
	v_add_f64 v[64:65], v[64:65], v[68:69]
	v_fma_f64 v[70:71], v[76:77], s[0:1], v[72:73]
	v_fma_f64 v[74:75], v[76:77], s[2:3], v[72:73]
	;; [unrolled: 1-line block ×4, first 2 shown]
	ds_write_b128 v213, v[64:67] offset:11520
	ds_write_b128 v213, v[72:75] offset:11776
	;; [unrolled: 1-line block ×3, first 2 shown]
.LBB0_9:
	s_or_b64 exec, exec, s[6:7]
	s_waitcnt lgkmcnt(0)
	; wave barrier
	s_waitcnt lgkmcnt(0)
	ds_read_b128 v[64:67], v213
	ds_read_b128 v[68:71], v213 offset:768
	ds_read_b128 v[72:75], v213 offset:1536
	ds_read_b128 v[76:79], v213 offset:2304
	ds_read_b128 v[80:83], v213 offset:3072
	ds_read_b128 v[144:147], v213 offset:3840
	ds_read_b128 v[148:151], v213 offset:4608
	ds_read_b128 v[152:155], v213 offset:5376
	ds_read_b128 v[156:159], v213 offset:6144
	ds_read_b128 v[160:163], v213 offset:6912
	ds_read_b128 v[164:167], v213 offset:7680
	ds_read_b128 v[168:171], v213 offset:8448
	ds_read_b128 v[172:175], v213 offset:9216
	ds_read_b128 v[176:179], v213 offset:9984
	s_waitcnt lgkmcnt(12)
	v_mul_f64 v[188:189], v[110:111], v[70:71]
	v_mul_f64 v[110:111], v[110:111], v[68:69]
	s_waitcnt lgkmcnt(11)
	v_mul_f64 v[190:191], v[94:95], v[74:75]
	v_mul_f64 v[94:95], v[94:95], v[72:73]
	;; [unrolled: 3-line block ×3, first 2 shown]
	ds_read_b128 v[180:183], v213 offset:10752
	ds_read_b128 v[184:187], v213 offset:11520
	s_mov_b32 s0, 0x667f3bcd
	v_fma_f64 v[68:69], v[108:109], v[68:69], v[188:189]
	v_fma_f64 v[70:71], v[108:109], v[70:71], -v[110:111]
	v_fma_f64 v[72:73], v[92:93], v[72:73], v[190:191]
	v_fma_f64 v[74:75], v[92:93], v[74:75], -v[94:95]
	v_fma_f64 v[76:77], v[88:89], v[76:77], v[192:193]
	v_fma_f64 v[78:79], v[88:89], v[78:79], -v[90:91]
	s_waitcnt lgkmcnt(11)
	v_mul_f64 v[88:89], v[86:87], v[82:83]
	v_mul_f64 v[86:87], v[86:87], v[80:81]
	s_waitcnt lgkmcnt(10)
	v_mul_f64 v[90:91], v[126:127], v[146:147]
	v_mul_f64 v[92:93], v[126:127], v[144:145]
	s_waitcnt lgkmcnt(9)
	v_mul_f64 v[94:95], v[106:107], v[150:151]
	v_mul_f64 v[106:107], v[106:107], v[148:149]
	s_waitcnt lgkmcnt(8)
	v_mul_f64 v[108:109], v[102:103], v[154:155]
	v_mul_f64 v[102:103], v[102:103], v[152:153]
	v_fma_f64 v[80:81], v[84:85], v[80:81], v[88:89]
	v_fma_f64 v[82:83], v[84:85], v[82:83], -v[86:87]
	v_fma_f64 v[84:85], v[124:125], v[144:145], v[90:91]
	v_fma_f64 v[86:87], v[124:125], v[146:147], -v[92:93]
	v_fma_f64 v[88:89], v[104:105], v[148:149], v[94:95]
	v_fma_f64 v[90:91], v[104:105], v[150:151], -v[106:107]
	v_fma_f64 v[92:93], v[100:101], v[152:153], v[108:109]
	v_fma_f64 v[94:95], v[100:101], v[154:155], -v[102:103]
	s_waitcnt lgkmcnt(7)
	v_mul_f64 v[100:101], v[98:99], v[158:159]
	v_mul_f64 v[98:99], v[98:99], v[156:157]
	s_waitcnt lgkmcnt(6)
	v_mul_f64 v[102:103], v[138:139], v[162:163]
	v_mul_f64 v[104:105], v[138:139], v[160:161]
	s_waitcnt lgkmcnt(5)
	v_mul_f64 v[106:107], v[122:123], v[166:167]
	v_mul_f64 v[108:109], v[122:123], v[164:165]
	s_waitcnt lgkmcnt(4)
	v_mul_f64 v[110:111], v[118:119], v[170:171]
	v_mul_f64 v[118:119], v[118:119], v[168:169]
	v_fma_f64 v[100:101], v[96:97], v[156:157], v[100:101]
	v_fma_f64 v[96:97], v[96:97], v[158:159], -v[98:99]
	;; [unrolled: 20-line block ×3, first 2 shown]
	v_fma_f64 v[114:115], v[140:141], v[176:177], v[118:119]
	v_fma_f64 v[118:119], v[140:141], v[178:179], -v[120:121]
	v_fma_f64 v[120:121], v[132:133], v[180:181], v[122:123]
	v_fma_f64 v[122:123], v[132:133], v[182:183], -v[124:125]
	v_add_f64 v[100:101], v[64:65], -v[100:101]
	v_add_f64 v[104:105], v[72:73], -v[104:105]
	;; [unrolled: 1-line block ×8, first 2 shown]
	v_fma_f64 v[124:125], v[128:129], v[184:185], v[126:127]
	v_fma_f64 v[126:127], v[128:129], v[186:187], -v[130:131]
	v_fma_f64 v[64:65], v[64:65], 2.0, -v[100:101]
	v_fma_f64 v[80:81], v[80:81], 2.0, -v[116:117]
	;; [unrolled: 1-line block ×8, first 2 shown]
	v_add_f64 v[98:99], v[68:69], -v[98:99]
	v_add_f64 v[102:103], v[70:71], -v[102:103]
	;; [unrolled: 1-line block ×12, first 2 shown]
	v_fma_f64 v[70:71], v[70:71], 2.0, -v[102:103]
	v_fma_f64 v[86:87], v[86:87], 2.0, -v[118:119]
	;; [unrolled: 1-line block ×4, first 2 shown]
	v_add_f64 v[112:113], v[100:101], v[112:113]
	v_add_f64 v[122:123], v[104:105], v[122:123]
	v_fma_f64 v[64:65], v[64:65], 2.0, -v[80:81]
	v_fma_f64 v[72:73], v[72:73], 2.0, -v[88:89]
	v_add_f64 v[118:119], v[98:99], v[118:119]
	v_add_f64 v[126:127], v[108:109], v[126:127]
	v_fma_f64 v[68:69], v[68:69], 2.0, -v[98:99]
	v_fma_f64 v[84:85], v[84:85], 2.0, -v[114:115]
	;; [unrolled: 1-line block ×4, first 2 shown]
	v_add_f64 v[116:117], v[96:97], -v[116:117]
	v_add_f64 v[120:121], v[106:107], -v[120:121]
	v_fma_f64 v[66:67], v[66:67], 2.0, -v[82:83]
	v_fma_f64 v[74:75], v[74:75], 2.0, -v[90:91]
	v_add_f64 v[114:115], v[102:103], -v[114:115]
	v_add_f64 v[124:125], v[110:111], -v[124:125]
	v_fma_f64 v[100:101], v[100:101], 2.0, -v[112:113]
	v_fma_f64 v[104:105], v[104:105], 2.0, -v[122:123]
	;; [unrolled: 4-line block ×3, first 2 shown]
	v_add_f64 v[132:133], v[64:65], -v[72:73]
	s_mov_b32 s1, 0xbfe6a09e
	s_mov_b32 s3, 0x3fe6a09e
	;; [unrolled: 1-line block ×3, first 2 shown]
	v_fma_f64 v[72:73], v[122:123], s[2:3], v[112:113]
	v_fma_f64 v[96:97], v[96:97], 2.0, -v[116:117]
	v_fma_f64 v[106:107], v[106:107], 2.0, -v[120:121]
	v_add_f64 v[84:85], v[68:69], -v[84:85]
	v_add_f64 v[92:93], v[76:77], -v[92:93]
	v_fma_f64 v[102:103], v[102:103], 2.0, -v[114:115]
	v_fma_f64 v[110:111], v[110:111], 2.0, -v[124:125]
	v_add_f64 v[134:135], v[66:67], -v[74:75]
	v_fma_f64 v[70:71], v[70:71], 2.0, -v[86:87]
	v_fma_f64 v[78:79], v[78:79], 2.0, -v[94:95]
	v_fma_f64 v[128:129], v[104:105], s[0:1], v[100:101]
	v_fma_f64 v[74:75], v[120:121], s[2:3], v[116:117]
	v_add_f64 v[138:139], v[82:83], -v[88:89]
	v_fma_f64 v[88:89], v[64:65], 2.0, -v[132:133]
	v_fma_f64 v[64:65], v[108:109], s[0:1], v[98:99]
	v_fma_f64 v[140:141], v[120:121], s[2:3], v[72:73]
	;; [unrolled: 1-line block ×3, first 2 shown]
	v_fma_f64 v[68:69], v[68:69], 2.0, -v[84:85]
	v_fma_f64 v[76:77], v[76:77], 2.0, -v[92:93]
	v_fma_f64 v[130:131], v[106:107], s[0:1], v[96:97]
	v_add_f64 v[136:137], v[80:81], v[90:91]
	v_fma_f64 v[90:91], v[66:67], 2.0, -v[134:135]
	v_fma_f64 v[66:67], v[110:111], s[0:1], v[102:103]
	v_fma_f64 v[128:129], v[106:107], s[2:3], v[128:129]
	;; [unrolled: 1-line block ×3, first 2 shown]
	v_add_f64 v[122:123], v[70:71], -v[78:79]
	v_fma_f64 v[110:111], v[110:111], s[2:3], v[64:65]
	v_fma_f64 v[74:75], v[124:125], s[2:3], v[114:115]
	v_add_f64 v[144:145], v[84:85], v[94:95]
	v_add_f64 v[146:147], v[86:87], -v[92:93]
	v_fma_f64 v[124:125], v[124:125], s[2:3], v[72:73]
	v_fma_f64 v[130:131], v[104:105], s[0:1], v[130:131]
	v_add_f64 v[120:121], v[68:69], -v[76:77]
	v_fma_f64 v[108:109], v[108:109], s[0:1], v[66:67]
	v_fma_f64 v[100:101], v[100:101], 2.0, -v[128:129]
	v_fma_f64 v[66:67], v[70:71], 2.0, -v[122:123]
	;; [unrolled: 1-line block ×5, first 2 shown]
	v_fma_f64 v[126:127], v[126:127], s[0:1], v[74:75]
	v_fma_f64 v[74:75], v[84:85], 2.0, -v[144:145]
	v_fma_f64 v[72:73], v[86:87], 2.0, -v[146:147]
	;; [unrolled: 1-line block ×4, first 2 shown]
	s_mov_b32 s6, 0xcf328d46
	v_fma_f64 v[96:97], v[96:97], 2.0, -v[130:131]
	v_fma_f64 v[64:65], v[68:69], 2.0, -v[120:121]
	;; [unrolled: 1-line block ×3, first 2 shown]
	s_mov_b32 s7, 0xbfed906b
	v_fma_f64 v[80:81], v[70:71], s[6:7], v[100:101]
	s_mov_b32 s12, 0xa6aea964
	s_mov_b32 s13, 0x3fd87de2
	v_fma_f64 v[84:85], v[74:75], s[0:1], v[104:105]
	v_fma_f64 v[86:87], v[72:73], s[0:1], v[106:107]
	s_mov_b32 s15, 0xbfd87de2
	s_mov_b32 s14, s12
	v_fma_f64 v[116:117], v[116:117], 2.0, -v[142:143]
	v_fma_f64 v[76:77], v[114:115], 2.0, -v[126:127]
	v_fma_f64 v[92:93], v[78:79], s[14:15], v[112:113]
	v_fma_f64 v[82:83], v[68:69], s[6:7], v[96:97]
	v_fma_f64 v[68:69], v[68:69], s[12:13], v[80:81]
	v_add_f64 v[64:65], v[88:89], -v[64:65]
	v_add_f64 v[66:67], v[90:91], -v[66:67]
	v_fma_f64 v[72:73], v[72:73], s[2:3], v[84:85]
	v_fma_f64 v[74:75], v[74:75], s[0:1], v[86:87]
	s_mov_b32 s17, 0x3fed906b
	s_mov_b32 s16, s6
	v_fma_f64 v[94:95], v[76:77], s[14:15], v[116:117]
	v_fma_f64 v[76:77], v[76:77], s[16:17], v[92:93]
	;; [unrolled: 1-line block ×3, first 2 shown]
	v_fma_f64 v[84:85], v[100:101], 2.0, -v[68:69]
	v_fma_f64 v[100:101], v[110:111], s[12:13], v[128:129]
	v_fma_f64 v[102:103], v[108:109], s[12:13], v[130:131]
	v_fma_f64 v[80:81], v[88:89], 2.0, -v[64:65]
	v_fma_f64 v[82:83], v[90:91], 2.0, -v[66:67]
	;; [unrolled: 1-line block ×4, first 2 shown]
	v_fma_f64 v[104:105], v[144:145], s[2:3], v[136:137]
	v_fma_f64 v[106:107], v[146:147], s[2:3], v[138:139]
	v_fma_f64 v[92:93], v[112:113], 2.0, -v[76:77]
	v_fma_f64 v[112:113], v[124:125], s[16:17], v[140:141]
	v_fma_f64 v[114:115], v[126:127], s[16:17], v[142:143]
	;; [unrolled: 1-line block ×3, first 2 shown]
	v_fma_f64 v[86:87], v[96:97], 2.0, -v[70:71]
	v_add_f64 v[96:97], v[132:133], v[122:123]
	v_add_f64 v[98:99], v[134:135], -v[120:121]
	v_fma_f64 v[100:101], v[108:109], s[16:17], v[100:101]
	v_fma_f64 v[102:103], v[110:111], s[6:7], v[102:103]
	;; [unrolled: 1-line block ×6, first 2 shown]
	v_fma_f64 v[94:95], v[116:117], 2.0, -v[78:79]
	v_fma_f64 v[112:113], v[132:133], 2.0, -v[96:97]
	;; [unrolled: 1-line block ×9, first 2 shown]
	ds_write_b128 v213, v[80:83]
	ds_write_b128 v213, v[84:87] offset:768
	ds_write_b128 v213, v[88:91] offset:1536
	;; [unrolled: 1-line block ×15, first 2 shown]
	s_waitcnt lgkmcnt(0)
	; wave barrier
	s_waitcnt lgkmcnt(0)
	ds_read_b128 v[64:67], v213
	ds_read_b128 v[68:71], v213 offset:768
	v_mad_u64_u32 v[72:73], s[0:1], s10, v208, 0
	s_mul_i32 s2, s9, 0x300
	s_waitcnt lgkmcnt(1)
	v_mul_f64 v[74:75], v[10:11], v[66:67]
	v_mul_f64 v[10:11], v[10:11], v[64:65]
	s_mul_hi_u32 s3, s8, 0x300
	s_add_i32 s2, s3, s2
	s_mul_i32 s3, s8, 0x300
	v_mad_u64_u32 v[76:77], s[0:1], s11, v208, v[73:74]
	v_mad_u64_u32 v[77:78], s[0:1], s8, v214, 0
	v_fma_f64 v[64:65], v[8:9], v[64:65], v[74:75]
	v_fma_f64 v[10:11], v[8:9], v[66:67], -v[10:11]
	v_mov_b32_e32 v8, v78
	v_mad_u64_u32 v[66:67], s[0:1], s9, v214, v[8:9]
	s_mov_b32 s0, 0x55555555
	s_mov_b32 s1, 0x3f555555
	v_mov_b32_e32 v78, v66
	s_waitcnt lgkmcnt(0)
	v_mul_f64 v[66:67], v[2:3], v[70:71]
	v_mul_f64 v[2:3], v[2:3], v[68:69]
	v_mov_b32_e32 v73, v76
	v_mul_f64 v[8:9], v[64:65], s[0:1]
	v_mul_f64 v[10:11], v[10:11], s[0:1]
	v_lshlrev_b64 v[64:65], 4, v[72:73]
	v_mov_b32_e32 v72, s5
	v_add_co_u32_e32 v74, vcc, s4, v64
	v_fma_f64 v[66:67], v[0:1], v[68:69], v[66:67]
	v_fma_f64 v[68:69], v[0:1], v[70:71], -v[2:3]
	ds_read_b128 v[0:3], v213 offset:1536
	v_addc_co_u32_e32 v75, vcc, v72, v65, vcc
	v_lshlrev_b64 v[64:65], 4, v[77:78]
	v_add_co_u32_e32 v70, vcc, v74, v64
	v_addc_co_u32_e32 v71, vcc, v75, v65, vcc
	global_store_dwordx4 v[70:71], v[8:11], off
	s_nop 0
	v_mul_f64 v[8:9], v[66:67], s[0:1]
	ds_read_b128 v[64:67], v213 offset:2304
	s_waitcnt lgkmcnt(1)
	v_mul_f64 v[72:73], v[30:31], v[2:3]
	v_mul_f64 v[30:31], v[30:31], v[0:1]
	;; [unrolled: 1-line block ×3, first 2 shown]
	v_mov_b32_e32 v68, s2
	v_fma_f64 v[0:1], v[28:29], v[0:1], v[72:73]
	v_fma_f64 v[2:3], v[28:29], v[2:3], -v[30:31]
	s_waitcnt lgkmcnt(0)
	v_mul_f64 v[28:29], v[22:23], v[66:67]
	v_add_co_u32_e32 v30, vcc, s3, v70
	v_mul_f64 v[22:23], v[22:23], v[64:65]
	v_addc_co_u32_e32 v31, vcc, v71, v68, vcc
	v_mul_f64 v[0:1], v[0:1], s[0:1]
	v_mul_f64 v[2:3], v[2:3], s[0:1]
	global_store_dwordx4 v[30:31], v[8:11], off
	s_nop 0
	v_fma_f64 v[8:9], v[20:21], v[64:65], v[28:29]
	v_add_co_u32_e32 v28, vcc, s3, v30
	v_addc_co_u32_e32 v29, vcc, v31, v68, vcc
	global_store_dwordx4 v[28:29], v[0:3], off
	ds_read_b128 v[0:3], v213 offset:3072
	v_fma_f64 v[10:11], v[20:21], v[66:67], -v[22:23]
	ds_read_b128 v[20:23], v213 offset:3840
	v_mul_f64 v[8:9], v[8:9], s[0:1]
	v_mad_u64_u32 v[64:65], s[4:5], s8, v215, 0
	s_waitcnt lgkmcnt(1)
	v_mul_f64 v[30:31], v[14:15], v[2:3]
	v_mul_f64 v[14:15], v[14:15], v[0:1]
	v_mov_b32_e32 v66, s2
	v_mul_f64 v[10:11], v[10:11], s[0:1]
	v_add_co_u32_e32 v28, vcc, s3, v28
	v_addc_co_u32_e32 v29, vcc, v29, v66, vcc
	v_fma_f64 v[0:1], v[12:13], v[0:1], v[30:31]
	v_fma_f64 v[2:3], v[12:13], v[2:3], -v[14:15]
	s_waitcnt lgkmcnt(0)
	v_mul_f64 v[13:14], v[6:7], v[22:23]
	v_mul_f64 v[6:7], v[6:7], v[20:21]
	v_mov_b32_e32 v12, v65
	global_store_dwordx4 v[28:29], v[8:11], off
	v_mul_f64 v[0:1], v[0:1], s[0:1]
	v_mul_f64 v[2:3], v[2:3], s[0:1]
	v_mad_u64_u32 v[30:31], s[4:5], s9, v215, v[12:13]
	v_fma_f64 v[10:11], v[4:5], v[20:21], v[13:14]
	v_fma_f64 v[12:13], v[4:5], v[22:23], -v[6:7]
	v_mov_b32_e32 v65, v30
	ds_read_b128 v[4:7], v213 offset:4608
	v_lshlrev_b64 v[8:9], 4, v[64:65]
	s_mul_i32 s4, s9, 0x600
	v_add_co_u32_e32 v8, vcc, v74, v8
	v_addc_co_u32_e32 v9, vcc, v75, v9, vcc
	global_store_dwordx4 v[8:9], v[0:3], off
	s_mul_hi_u32 s5, s8, 0x600
	v_mul_f64 v[0:1], v[10:11], s[0:1]
	ds_read_b128 v[8:11], v213 offset:5376
	s_waitcnt lgkmcnt(1)
	v_mul_f64 v[14:15], v[46:47], v[6:7]
	v_mul_f64 v[20:21], v[46:47], v[4:5]
	;; [unrolled: 1-line block ×3, first 2 shown]
	s_add_i32 s5, s5, s4
	s_mul_i32 s4, s8, 0x600
	v_mov_b32_e32 v22, s5
	s_waitcnt lgkmcnt(0)
	v_mul_f64 v[12:13], v[38:39], v[10:11]
	v_fma_f64 v[4:5], v[44:45], v[4:5], v[14:15]
	v_fma_f64 v[6:7], v[44:45], v[6:7], -v[20:21]
	v_add_co_u32_e32 v20, vcc, s4, v28
	v_addc_co_u32_e32 v21, vcc, v29, v22, vcc
	v_mul_f64 v[14:15], v[38:39], v[8:9]
	global_store_dwordx4 v[20:21], v[0:3], off
	v_mov_b32_e32 v22, s2
	v_mul_f64 v[0:1], v[4:5], s[0:1]
	v_mul_f64 v[2:3], v[6:7], s[0:1]
	v_fma_f64 v[4:5], v[36:37], v[8:9], v[12:13]
	v_add_co_u32_e32 v12, vcc, s3, v20
	v_addc_co_u32_e32 v13, vcc, v21, v22, vcc
	v_fma_f64 v[6:7], v[36:37], v[10:11], -v[14:15]
	ds_read_b128 v[8:11], v213 offset:6912
	global_store_dwordx4 v[12:13], v[0:3], off
	ds_read_b128 v[0:3], v213 offset:6144
	v_mul_f64 v[4:5], v[4:5], s[0:1]
	v_mad_u64_u32 v[22:23], s[6:7], s8, v217, 0
	v_mov_b32_e32 v28, s2
	s_waitcnt lgkmcnt(0)
	v_mul_f64 v[14:15], v[26:27], v[2:3]
	v_mul_f64 v[20:21], v[26:27], v[0:1]
	;; [unrolled: 1-line block ×3, first 2 shown]
	v_add_co_u32_e32 v12, vcc, s3, v12
	v_addc_co_u32_e32 v13, vcc, v13, v28, vcc
	v_fma_f64 v[0:1], v[24:25], v[0:1], v[14:15]
	v_fma_f64 v[2:3], v[24:25], v[2:3], -v[20:21]
	v_mul_f64 v[20:21], v[34:35], v[10:11]
	v_mul_f64 v[24:25], v[34:35], v[8:9]
	v_mov_b32_e32 v14, v23
	v_mad_u64_u32 v[14:15], s[6:7], s9, v217, v[14:15]
	global_store_dwordx4 v[12:13], v[4:7], off
	ds_read_b128 v[4:7], v213 offset:7680
	v_mov_b32_e32 v23, v14
	v_mul_f64 v[0:1], v[0:1], s[0:1]
	v_mul_f64 v[2:3], v[2:3], s[0:1]
	v_lshlrev_b64 v[14:15], 4, v[22:23]
	v_fma_f64 v[20:21], v[32:33], v[8:9], v[20:21]
	v_fma_f64 v[22:23], v[32:33], v[10:11], -v[24:25]
	ds_read_b128 v[8:11], v213 offset:8448
	s_waitcnt lgkmcnt(1)
	v_mul_f64 v[24:25], v[18:19], v[6:7]
	v_mul_f64 v[18:19], v[18:19], v[4:5]
	v_add_co_u32_e32 v14, vcc, v74, v14
	v_addc_co_u32_e32 v15, vcc, v75, v15, vcc
	global_store_dwordx4 v[14:15], v[0:3], off
	v_add_co_u32_e32 v12, vcc, s4, v12
	v_mul_f64 v[0:1], v[20:21], s[0:1]
	v_mul_f64 v[2:3], v[22:23], s[0:1]
	v_fma_f64 v[4:5], v[16:17], v[4:5], v[24:25]
	v_fma_f64 v[6:7], v[16:17], v[6:7], -v[18:19]
	v_mov_b32_e32 v20, s5
	v_addc_co_u32_e32 v13, vcc, v13, v20, vcc
	s_waitcnt lgkmcnt(0)
	v_mul_f64 v[14:15], v[50:51], v[10:11]
	v_mul_f64 v[16:17], v[50:51], v[8:9]
	global_store_dwordx4 v[12:13], v[0:3], off
	v_mov_b32_e32 v18, s2
	v_mul_f64 v[0:1], v[4:5], s[0:1]
	v_mul_f64 v[2:3], v[6:7], s[0:1]
	v_add_co_u32_e32 v12, vcc, s3, v12
	v_addc_co_u32_e32 v13, vcc, v13, v18, vcc
	v_fma_f64 v[4:5], v[48:49], v[8:9], v[14:15]
	v_fma_f64 v[6:7], v[48:49], v[10:11], -v[16:17]
	ds_read_b128 v[8:11], v213 offset:9984
	global_store_dwordx4 v[12:13], v[0:3], off
	ds_read_b128 v[0:3], v213 offset:9216
	v_mad_u64_u32 v[18:19], s[6:7], s8, v216, 0
	v_mov_b32_e32 v20, s2
	v_mul_f64 v[4:5], v[4:5], s[0:1]
	s_waitcnt lgkmcnt(0)
	v_mul_f64 v[14:15], v[42:43], v[2:3]
	v_mul_f64 v[16:17], v[42:43], v[0:1]
	;; [unrolled: 1-line block ×3, first 2 shown]
	v_add_co_u32_e32 v12, vcc, s3, v12
	v_addc_co_u32_e32 v13, vcc, v13, v20, vcc
	v_mul_f64 v[20:21], v[62:63], v[8:9]
	v_fma_f64 v[0:1], v[40:41], v[0:1], v[14:15]
	v_fma_f64 v[2:3], v[40:41], v[2:3], -v[16:17]
	v_mul_f64 v[15:16], v[62:63], v[10:11]
	v_mov_b32_e32 v14, v19
	global_store_dwordx4 v[12:13], v[4:7], off
	v_mul_f64 v[0:1], v[0:1], s[0:1]
	v_mul_f64 v[2:3], v[2:3], s[0:1]
	v_mad_u64_u32 v[22:23], s[6:7], s9, v216, v[14:15]
	v_fma_f64 v[14:15], v[60:61], v[8:9], v[15:16]
	v_mov_b32_e32 v19, v22
	v_lshlrev_b64 v[17:18], 4, v[18:19]
	v_fma_f64 v[19:20], v[60:61], v[10:11], -v[20:21]
	ds_read_b128 v[4:7], v213 offset:10752
	ds_read_b128 v[8:11], v213 offset:11520
	v_add_co_u32_e32 v16, vcc, v74, v17
	v_addc_co_u32_e32 v17, vcc, v75, v18, vcc
	s_waitcnt lgkmcnt(1)
	v_mul_f64 v[21:22], v[54:55], v[6:7]
	v_mul_f64 v[23:24], v[54:55], v[4:5]
	s_waitcnt lgkmcnt(0)
	v_mul_f64 v[25:26], v[58:59], v[10:11]
	v_mul_f64 v[27:28], v[58:59], v[8:9]
	global_store_dwordx4 v[16:17], v[0:3], off
	v_add_co_u32_e32 v12, vcc, s4, v12
	v_mul_f64 v[0:1], v[14:15], s[0:1]
	v_mul_f64 v[2:3], v[19:20], s[0:1]
	v_fma_f64 v[4:5], v[52:53], v[4:5], v[21:22]
	v_fma_f64 v[6:7], v[52:53], v[6:7], -v[23:24]
	v_fma_f64 v[8:9], v[56:57], v[8:9], v[25:26]
	v_fma_f64 v[10:11], v[56:57], v[10:11], -v[27:28]
	v_mov_b32_e32 v14, s5
	v_addc_co_u32_e32 v13, vcc, v13, v14, vcc
	global_store_dwordx4 v[12:13], v[0:3], off
	v_mov_b32_e32 v14, s2
	v_mul_f64 v[0:1], v[4:5], s[0:1]
	v_mul_f64 v[2:3], v[6:7], s[0:1]
	;; [unrolled: 1-line block ×4, first 2 shown]
	v_add_co_u32_e32 v8, vcc, s3, v12
	v_addc_co_u32_e32 v9, vcc, v13, v14, vcc
	global_store_dwordx4 v[8:9], v[0:3], off
	s_nop 0
	v_mov_b32_e32 v1, s2
	v_add_co_u32_e32 v0, vcc, s3, v8
	v_addc_co_u32_e32 v1, vcc, v9, v1, vcc
	global_store_dwordx4 v[0:1], v[4:7], off
.LBB0_10:
	s_endpgm
	.section	.rodata,"a",@progbits
	.p2align	6, 0x0
	.amdhsa_kernel bluestein_single_fwd_len768_dim1_dp_op_CI_CI
		.amdhsa_group_segment_fixed_size 12288
		.amdhsa_private_segment_fixed_size 0
		.amdhsa_kernarg_size 104
		.amdhsa_user_sgpr_count 6
		.amdhsa_user_sgpr_private_segment_buffer 1
		.amdhsa_user_sgpr_dispatch_ptr 0
		.amdhsa_user_sgpr_queue_ptr 0
		.amdhsa_user_sgpr_kernarg_segment_ptr 1
		.amdhsa_user_sgpr_dispatch_id 0
		.amdhsa_user_sgpr_flat_scratch_init 0
		.amdhsa_user_sgpr_private_segment_size 0
		.amdhsa_uses_dynamic_stack 0
		.amdhsa_system_sgpr_private_segment_wavefront_offset 0
		.amdhsa_system_sgpr_workgroup_id_x 1
		.amdhsa_system_sgpr_workgroup_id_y 0
		.amdhsa_system_sgpr_workgroup_id_z 0
		.amdhsa_system_sgpr_workgroup_info 0
		.amdhsa_system_vgpr_workitem_id 0
		.amdhsa_next_free_vgpr 245
		.amdhsa_next_free_sgpr 22
		.amdhsa_reserve_vcc 1
		.amdhsa_reserve_flat_scratch 0
		.amdhsa_float_round_mode_32 0
		.amdhsa_float_round_mode_16_64 0
		.amdhsa_float_denorm_mode_32 3
		.amdhsa_float_denorm_mode_16_64 3
		.amdhsa_dx10_clamp 1
		.amdhsa_ieee_mode 1
		.amdhsa_fp16_overflow 0
		.amdhsa_exception_fp_ieee_invalid_op 0
		.amdhsa_exception_fp_denorm_src 0
		.amdhsa_exception_fp_ieee_div_zero 0
		.amdhsa_exception_fp_ieee_overflow 0
		.amdhsa_exception_fp_ieee_underflow 0
		.amdhsa_exception_fp_ieee_inexact 0
		.amdhsa_exception_int_div_zero 0
	.end_amdhsa_kernel
	.text
.Lfunc_end0:
	.size	bluestein_single_fwd_len768_dim1_dp_op_CI_CI, .Lfunc_end0-bluestein_single_fwd_len768_dim1_dp_op_CI_CI
                                        ; -- End function
	.section	.AMDGPU.csdata,"",@progbits
; Kernel info:
; codeLenInByte = 14432
; NumSgprs: 26
; NumVgprs: 245
; ScratchSize: 0
; MemoryBound: 0
; FloatMode: 240
; IeeeMode: 1
; LDSByteSize: 12288 bytes/workgroup (compile time only)
; SGPRBlocks: 3
; VGPRBlocks: 61
; NumSGPRsForWavesPerEU: 26
; NumVGPRsForWavesPerEU: 245
; Occupancy: 1
; WaveLimiterHint : 1
; COMPUTE_PGM_RSRC2:SCRATCH_EN: 0
; COMPUTE_PGM_RSRC2:USER_SGPR: 6
; COMPUTE_PGM_RSRC2:TRAP_HANDLER: 0
; COMPUTE_PGM_RSRC2:TGID_X_EN: 1
; COMPUTE_PGM_RSRC2:TGID_Y_EN: 0
; COMPUTE_PGM_RSRC2:TGID_Z_EN: 0
; COMPUTE_PGM_RSRC2:TIDIG_COMP_CNT: 0
	.type	__hip_cuid_ba0a941cb0b41c6a,@object ; @__hip_cuid_ba0a941cb0b41c6a
	.section	.bss,"aw",@nobits
	.globl	__hip_cuid_ba0a941cb0b41c6a
__hip_cuid_ba0a941cb0b41c6a:
	.byte	0                               ; 0x0
	.size	__hip_cuid_ba0a941cb0b41c6a, 1

	.ident	"AMD clang version 19.0.0git (https://github.com/RadeonOpenCompute/llvm-project roc-6.4.0 25133 c7fe45cf4b819c5991fe208aaa96edf142730f1d)"
	.section	".note.GNU-stack","",@progbits
	.addrsig
	.addrsig_sym __hip_cuid_ba0a941cb0b41c6a
	.amdgpu_metadata
---
amdhsa.kernels:
  - .args:
      - .actual_access:  read_only
        .address_space:  global
        .offset:         0
        .size:           8
        .value_kind:     global_buffer
      - .actual_access:  read_only
        .address_space:  global
        .offset:         8
        .size:           8
        .value_kind:     global_buffer
      - .actual_access:  read_only
        .address_space:  global
        .offset:         16
        .size:           8
        .value_kind:     global_buffer
      - .actual_access:  read_only
        .address_space:  global
        .offset:         24
        .size:           8
        .value_kind:     global_buffer
      - .actual_access:  read_only
        .address_space:  global
        .offset:         32
        .size:           8
        .value_kind:     global_buffer
      - .offset:         40
        .size:           8
        .value_kind:     by_value
      - .address_space:  global
        .offset:         48
        .size:           8
        .value_kind:     global_buffer
      - .address_space:  global
        .offset:         56
        .size:           8
        .value_kind:     global_buffer
      - .address_space:  global
        .offset:         64
        .size:           8
        .value_kind:     global_buffer
      - .address_space:  global
        .offset:         72
        .size:           8
        .value_kind:     global_buffer
      - .offset:         80
        .size:           4
        .value_kind:     by_value
      - .address_space:  global
        .offset:         88
        .size:           8
        .value_kind:     global_buffer
      - .address_space:  global
        .offset:         96
        .size:           8
        .value_kind:     global_buffer
    .group_segment_fixed_size: 12288
    .kernarg_segment_align: 8
    .kernarg_segment_size: 104
    .language:       OpenCL C
    .language_version:
      - 2
      - 0
    .max_flat_workgroup_size: 48
    .name:           bluestein_single_fwd_len768_dim1_dp_op_CI_CI
    .private_segment_fixed_size: 0
    .sgpr_count:     26
    .sgpr_spill_count: 0
    .symbol:         bluestein_single_fwd_len768_dim1_dp_op_CI_CI.kd
    .uniform_work_group_size: 1
    .uses_dynamic_stack: false
    .vgpr_count:     245
    .vgpr_spill_count: 0
    .wavefront_size: 64
amdhsa.target:   amdgcn-amd-amdhsa--gfx906
amdhsa.version:
  - 1
  - 2
...

	.end_amdgpu_metadata
